;; amdgpu-corpus repo=ROCm/rocFFT kind=compiled arch=gfx1201 opt=O3
	.text
	.amdgcn_target "amdgcn-amd-amdhsa--gfx1201"
	.amdhsa_code_object_version 6
	.protected	fft_rtc_fwd_len2700_factors_3_10_10_3_3_wgs_90_tpt_90_halfLds_sp_op_CI_CI_sbrr_dirReg ; -- Begin function fft_rtc_fwd_len2700_factors_3_10_10_3_3_wgs_90_tpt_90_halfLds_sp_op_CI_CI_sbrr_dirReg
	.globl	fft_rtc_fwd_len2700_factors_3_10_10_3_3_wgs_90_tpt_90_halfLds_sp_op_CI_CI_sbrr_dirReg
	.p2align	8
	.type	fft_rtc_fwd_len2700_factors_3_10_10_3_3_wgs_90_tpt_90_halfLds_sp_op_CI_CI_sbrr_dirReg,@function
fft_rtc_fwd_len2700_factors_3_10_10_3_3_wgs_90_tpt_90_halfLds_sp_op_CI_CI_sbrr_dirReg: ; @fft_rtc_fwd_len2700_factors_3_10_10_3_3_wgs_90_tpt_90_halfLds_sp_op_CI_CI_sbrr_dirReg
; %bb.0:
	s_clause 0x2
	s_load_b128 s[12:15], s[0:1], 0x18
	s_load_b128 s[8:11], s[0:1], 0x0
	;; [unrolled: 1-line block ×3, first 2 shown]
	v_mul_u32_u24_e32 v1, 0x2d9, v0
	v_mov_b32_e32 v52, 0
	v_mov_b32_e32 v53, 0
	s_wait_kmcnt 0x0
	s_load_b64 s[18:19], s[12:13], 0x0
	s_load_b64 s[16:17], s[14:15], 0x0
	v_lshrrev_b32_e32 v2, 16, v1
	v_mov_b32_e32 v1, 0
	v_cmp_lt_u64_e64 s2, s[10:11], 2
	s_delay_alu instid0(VALU_DEP_2) | instskip(NEXT) | instid1(VALU_DEP_2)
	v_dual_mov_b32 v4, v1 :: v_dual_add_nc_u32 v3, ttmp9, v2
	s_and_b32 vcc_lo, exec_lo, s2
	s_cbranch_vccnz .LBB0_8
; %bb.1:
	s_load_b64 s[2:3], s[0:1], 0x10
	v_mov_b32_e32 v52, 0
	v_mov_b32_e32 v53, 0
	s_delay_alu instid0(VALU_DEP_2)
	v_mov_b32_e32 v48, v52
	s_add_nc_u64 s[20:21], s[14:15], 8
	s_add_nc_u64 s[22:23], s[12:13], 8
	s_mov_b64 s[24:25], 1
	v_mov_b32_e32 v49, v53
	s_wait_kmcnt 0x0
	s_add_nc_u64 s[26:27], s[2:3], 8
	s_mov_b32 s3, 0
.LBB0_2:                                ; =>This Inner Loop Header: Depth=1
	s_load_b64 s[28:29], s[26:27], 0x0
                                        ; implicit-def: $vgpr50_vgpr51
	s_mov_b32 s2, exec_lo
	s_wait_kmcnt 0x0
	v_or_b32_e32 v2, s29, v4
	s_delay_alu instid0(VALU_DEP_1)
	v_cmpx_ne_u64_e32 0, v[1:2]
	s_wait_alu 0xfffe
	s_xor_b32 s30, exec_lo, s2
	s_cbranch_execz .LBB0_4
; %bb.3:                                ;   in Loop: Header=BB0_2 Depth=1
	s_cvt_f32_u32 s2, s28
	s_cvt_f32_u32 s31, s29
	s_sub_nc_u64 s[36:37], 0, s[28:29]
	s_wait_alu 0xfffe
	s_delay_alu instid0(SALU_CYCLE_1) | instskip(SKIP_1) | instid1(SALU_CYCLE_2)
	s_fmamk_f32 s2, s31, 0x4f800000, s2
	s_wait_alu 0xfffe
	v_s_rcp_f32 s2, s2
	s_delay_alu instid0(TRANS32_DEP_1) | instskip(SKIP_1) | instid1(SALU_CYCLE_2)
	s_mul_f32 s2, s2, 0x5f7ffffc
	s_wait_alu 0xfffe
	s_mul_f32 s31, s2, 0x2f800000
	s_wait_alu 0xfffe
	s_delay_alu instid0(SALU_CYCLE_2) | instskip(SKIP_1) | instid1(SALU_CYCLE_2)
	s_trunc_f32 s31, s31
	s_wait_alu 0xfffe
	s_fmamk_f32 s2, s31, 0xcf800000, s2
	s_cvt_u32_f32 s35, s31
	s_wait_alu 0xfffe
	s_delay_alu instid0(SALU_CYCLE_1) | instskip(SKIP_1) | instid1(SALU_CYCLE_2)
	s_cvt_u32_f32 s34, s2
	s_wait_alu 0xfffe
	s_mul_u64 s[38:39], s[36:37], s[34:35]
	s_wait_alu 0xfffe
	s_mul_hi_u32 s41, s34, s39
	s_mul_i32 s40, s34, s39
	s_mul_hi_u32 s2, s34, s38
	s_mul_i32 s33, s35, s38
	s_wait_alu 0xfffe
	s_add_nc_u64 s[40:41], s[2:3], s[40:41]
	s_mul_hi_u32 s31, s35, s38
	s_mul_hi_u32 s42, s35, s39
	s_add_co_u32 s2, s40, s33
	s_wait_alu 0xfffe
	s_add_co_ci_u32 s2, s41, s31
	s_mul_i32 s38, s35, s39
	s_add_co_ci_u32 s39, s42, 0
	s_wait_alu 0xfffe
	s_add_nc_u64 s[38:39], s[2:3], s[38:39]
	s_wait_alu 0xfffe
	v_add_co_u32 v2, s2, s34, s38
	s_delay_alu instid0(VALU_DEP_1) | instskip(SKIP_1) | instid1(VALU_DEP_1)
	s_cmp_lg_u32 s2, 0
	s_add_co_ci_u32 s35, s35, s39
	v_readfirstlane_b32 s34, v2
	s_wait_alu 0xfffe
	s_delay_alu instid0(VALU_DEP_1)
	s_mul_u64 s[36:37], s[36:37], s[34:35]
	s_wait_alu 0xfffe
	s_mul_hi_u32 s39, s34, s37
	s_mul_i32 s38, s34, s37
	s_mul_hi_u32 s2, s34, s36
	s_mul_i32 s33, s35, s36
	s_wait_alu 0xfffe
	s_add_nc_u64 s[38:39], s[2:3], s[38:39]
	s_mul_hi_u32 s31, s35, s36
	s_mul_hi_u32 s34, s35, s37
	s_wait_alu 0xfffe
	s_add_co_u32 s2, s38, s33
	s_add_co_ci_u32 s2, s39, s31
	s_mul_i32 s36, s35, s37
	s_add_co_ci_u32 s37, s34, 0
	s_wait_alu 0xfffe
	s_add_nc_u64 s[36:37], s[2:3], s[36:37]
	s_wait_alu 0xfffe
	v_add_co_u32 v2, s2, v2, s36
	s_delay_alu instid0(VALU_DEP_1) | instskip(SKIP_1) | instid1(VALU_DEP_1)
	s_cmp_lg_u32 s2, 0
	s_add_co_ci_u32 s2, s35, s37
	v_mul_hi_u32 v11, v3, v2
	s_wait_alu 0xfffe
	v_mad_co_u64_u32 v[5:6], null, v3, s2, 0
	v_mad_co_u64_u32 v[7:8], null, v4, v2, 0
	;; [unrolled: 1-line block ×3, first 2 shown]
	s_delay_alu instid0(VALU_DEP_3) | instskip(SKIP_1) | instid1(VALU_DEP_4)
	v_add_co_u32 v2, vcc_lo, v11, v5
	s_wait_alu 0xfffd
	v_add_co_ci_u32_e32 v5, vcc_lo, 0, v6, vcc_lo
	s_delay_alu instid0(VALU_DEP_2) | instskip(SKIP_1) | instid1(VALU_DEP_2)
	v_add_co_u32 v2, vcc_lo, v2, v7
	s_wait_alu 0xfffd
	v_add_co_ci_u32_e32 v2, vcc_lo, v5, v8, vcc_lo
	s_wait_alu 0xfffd
	v_add_co_ci_u32_e32 v5, vcc_lo, 0, v10, vcc_lo
	s_delay_alu instid0(VALU_DEP_2) | instskip(SKIP_1) | instid1(VALU_DEP_2)
	v_add_co_u32 v2, vcc_lo, v2, v9
	s_wait_alu 0xfffd
	v_add_co_ci_u32_e32 v7, vcc_lo, 0, v5, vcc_lo
	s_delay_alu instid0(VALU_DEP_2) | instskip(SKIP_1) | instid1(VALU_DEP_3)
	v_mul_lo_u32 v8, s29, v2
	v_mad_co_u64_u32 v[5:6], null, s28, v2, 0
	v_mul_lo_u32 v9, s28, v7
	s_delay_alu instid0(VALU_DEP_2) | instskip(NEXT) | instid1(VALU_DEP_2)
	v_sub_co_u32 v5, vcc_lo, v3, v5
	v_add3_u32 v6, v6, v9, v8
	s_delay_alu instid0(VALU_DEP_1) | instskip(SKIP_1) | instid1(VALU_DEP_1)
	v_sub_nc_u32_e32 v8, v4, v6
	s_wait_alu 0xfffd
	v_subrev_co_ci_u32_e64 v8, s2, s29, v8, vcc_lo
	v_add_co_u32 v9, s2, v2, 2
	s_wait_alu 0xf1ff
	v_add_co_ci_u32_e64 v10, s2, 0, v7, s2
	v_sub_co_u32 v11, s2, v5, s28
	v_sub_co_ci_u32_e32 v6, vcc_lo, v4, v6, vcc_lo
	s_wait_alu 0xf1ff
	v_subrev_co_ci_u32_e64 v8, s2, 0, v8, s2
	s_delay_alu instid0(VALU_DEP_3) | instskip(NEXT) | instid1(VALU_DEP_3)
	v_cmp_le_u32_e32 vcc_lo, s28, v11
	v_cmp_eq_u32_e64 s2, s29, v6
	s_wait_alu 0xfffd
	v_cndmask_b32_e64 v11, 0, -1, vcc_lo
	v_cmp_le_u32_e32 vcc_lo, s29, v8
	s_wait_alu 0xfffd
	v_cndmask_b32_e64 v12, 0, -1, vcc_lo
	v_cmp_le_u32_e32 vcc_lo, s28, v5
	;; [unrolled: 3-line block ×3, first 2 shown]
	s_wait_alu 0xfffd
	v_cndmask_b32_e64 v13, 0, -1, vcc_lo
	v_cmp_eq_u32_e32 vcc_lo, s29, v8
	s_wait_alu 0xf1ff
	s_delay_alu instid0(VALU_DEP_2)
	v_cndmask_b32_e64 v5, v13, v5, s2
	s_wait_alu 0xfffd
	v_cndmask_b32_e32 v8, v12, v11, vcc_lo
	v_add_co_u32 v11, vcc_lo, v2, 1
	s_wait_alu 0xfffd
	v_add_co_ci_u32_e32 v12, vcc_lo, 0, v7, vcc_lo
	s_delay_alu instid0(VALU_DEP_3) | instskip(SKIP_1) | instid1(VALU_DEP_2)
	v_cmp_ne_u32_e32 vcc_lo, 0, v8
	s_wait_alu 0xfffd
	v_cndmask_b32_e32 v6, v12, v10, vcc_lo
	v_cndmask_b32_e32 v8, v11, v9, vcc_lo
	v_cmp_ne_u32_e32 vcc_lo, 0, v5
	s_wait_alu 0xfffd
	s_delay_alu instid0(VALU_DEP_2)
	v_dual_cndmask_b32 v51, v7, v6 :: v_dual_cndmask_b32 v50, v2, v8
.LBB0_4:                                ;   in Loop: Header=BB0_2 Depth=1
	s_wait_alu 0xfffe
	s_and_not1_saveexec_b32 s2, s30
	s_cbranch_execz .LBB0_6
; %bb.5:                                ;   in Loop: Header=BB0_2 Depth=1
	v_cvt_f32_u32_e32 v2, s28
	s_sub_co_i32 s30, 0, s28
	v_mov_b32_e32 v51, v1
	s_delay_alu instid0(VALU_DEP_2) | instskip(NEXT) | instid1(TRANS32_DEP_1)
	v_rcp_iflag_f32_e32 v2, v2
	v_mul_f32_e32 v2, 0x4f7ffffe, v2
	s_delay_alu instid0(VALU_DEP_1) | instskip(SKIP_1) | instid1(VALU_DEP_1)
	v_cvt_u32_f32_e32 v2, v2
	s_wait_alu 0xfffe
	v_mul_lo_u32 v5, s30, v2
	s_delay_alu instid0(VALU_DEP_1) | instskip(NEXT) | instid1(VALU_DEP_1)
	v_mul_hi_u32 v5, v2, v5
	v_add_nc_u32_e32 v2, v2, v5
	s_delay_alu instid0(VALU_DEP_1) | instskip(NEXT) | instid1(VALU_DEP_1)
	v_mul_hi_u32 v2, v3, v2
	v_mul_lo_u32 v5, v2, s28
	v_add_nc_u32_e32 v6, 1, v2
	s_delay_alu instid0(VALU_DEP_2) | instskip(NEXT) | instid1(VALU_DEP_1)
	v_sub_nc_u32_e32 v5, v3, v5
	v_subrev_nc_u32_e32 v7, s28, v5
	v_cmp_le_u32_e32 vcc_lo, s28, v5
	s_wait_alu 0xfffd
	s_delay_alu instid0(VALU_DEP_2) | instskip(NEXT) | instid1(VALU_DEP_1)
	v_dual_cndmask_b32 v5, v5, v7 :: v_dual_cndmask_b32 v2, v2, v6
	v_cmp_le_u32_e32 vcc_lo, s28, v5
	s_delay_alu instid0(VALU_DEP_2) | instskip(SKIP_1) | instid1(VALU_DEP_1)
	v_add_nc_u32_e32 v6, 1, v2
	s_wait_alu 0xfffd
	v_cndmask_b32_e32 v50, v2, v6, vcc_lo
.LBB0_6:                                ;   in Loop: Header=BB0_2 Depth=1
	s_wait_alu 0xfffe
	s_or_b32 exec_lo, exec_lo, s2
	v_mul_lo_u32 v2, v51, s28
	s_delay_alu instid0(VALU_DEP_2)
	v_mul_lo_u32 v7, v50, s29
	s_load_b64 s[30:31], s[22:23], 0x0
	v_mad_co_u64_u32 v[5:6], null, v50, s28, 0
	s_load_b64 s[28:29], s[20:21], 0x0
	s_add_nc_u64 s[24:25], s[24:25], 1
	s_add_nc_u64 s[20:21], s[20:21], 8
	s_wait_alu 0xfffe
	v_cmp_ge_u64_e64 s2, s[24:25], s[10:11]
	s_add_nc_u64 s[22:23], s[22:23], 8
	s_add_nc_u64 s[26:27], s[26:27], 8
	v_add3_u32 v2, v6, v7, v2
	v_sub_co_u32 v3, vcc_lo, v3, v5
	s_wait_alu 0xfffd
	s_delay_alu instid0(VALU_DEP_2) | instskip(SKIP_2) | instid1(VALU_DEP_1)
	v_sub_co_ci_u32_e32 v2, vcc_lo, v4, v2, vcc_lo
	s_and_b32 vcc_lo, exec_lo, s2
	s_wait_kmcnt 0x0
	v_mul_lo_u32 v4, s30, v2
	v_mul_lo_u32 v5, s31, v3
	v_mad_co_u64_u32 v[52:53], null, s30, v3, v[52:53]
	v_mul_lo_u32 v2, s28, v2
	v_mul_lo_u32 v6, s29, v3
	v_mad_co_u64_u32 v[48:49], null, s28, v3, v[48:49]
	s_delay_alu instid0(VALU_DEP_4) | instskip(NEXT) | instid1(VALU_DEP_2)
	v_add3_u32 v53, v5, v53, v4
	v_add3_u32 v49, v6, v49, v2
	s_wait_alu 0xfffe
	s_cbranch_vccnz .LBB0_9
; %bb.7:                                ;   in Loop: Header=BB0_2 Depth=1
	v_dual_mov_b32 v3, v50 :: v_dual_mov_b32 v4, v51
	s_branch .LBB0_2
.LBB0_8:
	v_dual_mov_b32 v48, v52 :: v_dual_mov_b32 v49, v53
	s_delay_alu instid0(VALU_DEP_2)
	v_dual_mov_b32 v51, v4 :: v_dual_mov_b32 v50, v3
.LBB0_9:
	s_load_b64 s[0:1], s[0:1], 0x28
	v_mul_hi_u32 v2, 0x2d82d83, v0
	s_lshl_b64 s[10:11], s[10:11], 3
                                        ; implicit-def: $vgpr86
                                        ; implicit-def: $vgpr113
                                        ; implicit-def: $vgpr114
                                        ; implicit-def: $vgpr87
                                        ; implicit-def: $vgpr88
                                        ; implicit-def: $vgpr89
                                        ; implicit-def: $vgpr90
                                        ; implicit-def: $vgpr91
                                        ; implicit-def: $vgpr92
                                        ; implicit-def: $vgpr93
	s_wait_kmcnt 0x0
	v_cmp_gt_u64_e32 vcc_lo, s[0:1], v[50:51]
	v_cmp_le_u64_e64 s0, s[0:1], v[50:51]
	s_delay_alu instid0(VALU_DEP_1)
	s_and_saveexec_b32 s1, s0
	s_wait_alu 0xfffe
	s_xor_b32 s0, exec_lo, s1
; %bb.10:
	v_mul_u32_u24_e32 v1, 0x5a, v2
                                        ; implicit-def: $vgpr2
                                        ; implicit-def: $vgpr52_vgpr53
	s_delay_alu instid0(VALU_DEP_1) | instskip(NEXT) | instid1(VALU_DEP_1)
	v_sub_nc_u32_e32 v86, v0, v1
                                        ; implicit-def: $vgpr0
	v_add_nc_u32_e32 v113, 0x5a, v86
	v_add_nc_u32_e32 v114, 0xb4, v86
	v_add_nc_u32_e32 v87, 0x10e, v86
	v_add_nc_u32_e32 v88, 0x168, v86
	v_add_nc_u32_e32 v89, 0x1c2, v86
	v_add_nc_u32_e32 v90, 0x21c, v86
	v_add_nc_u32_e32 v91, 0x276, v86
	v_add_nc_u32_e32 v92, 0x2d0, v86
	v_add_nc_u32_e32 v93, 0x32a, v86
; %bb.11:
	s_wait_alu 0xfffe
	s_or_saveexec_b32 s1, s0
	s_add_nc_u64 s[2:3], s[14:15], s[10:11]
                                        ; implicit-def: $vgpr31
                                        ; implicit-def: $vgpr33
                                        ; implicit-def: $vgpr21
                                        ; implicit-def: $vgpr71
                                        ; implicit-def: $vgpr79
                                        ; implicit-def: $vgpr25
                                        ; implicit-def: $vgpr73
                                        ; implicit-def: $vgpr75
                                        ; implicit-def: $vgpr17
                                        ; implicit-def: $vgpr77
                                        ; implicit-def: $vgpr41
                                        ; implicit-def: $vgpr7
                                        ; implicit-def: $vgpr43
                                        ; implicit-def: $vgpr69
                                        ; implicit-def: $vgpr1
                                        ; implicit-def: $vgpr37
                                        ; implicit-def: $vgpr39
                                        ; implicit-def: $vgpr35
                                        ; implicit-def: $vgpr23
                                        ; implicit-def: $vgpr27
                                        ; implicit-def: $vgpr19
                                        ; implicit-def: $vgpr29
                                        ; implicit-def: $vgpr13
                                        ; implicit-def: $vgpr9
                                        ; implicit-def: $vgpr11
                                        ; implicit-def: $vgpr15
                                        ; implicit-def: $vgpr3
                                        ; implicit-def: $vgpr45
                                        ; implicit-def: $vgpr47
                                        ; implicit-def: $vgpr5
	s_wait_alu 0xfffe
	s_xor_b32 exec_lo, exec_lo, s1
	s_cbranch_execz .LBB0_13
; %bb.12:
	s_add_nc_u64 s[10:11], s[12:13], s[10:11]
	v_mul_u32_u24_e32 v1, 0x5a, v2
	s_load_b64 s[10:11], s[10:11], 0x0
	v_lshlrev_b64_e32 v[10:11], 3, v[52:53]
	s_delay_alu instid0(VALU_DEP_2) | instskip(NEXT) | instid1(VALU_DEP_1)
	v_sub_nc_u32_e32 v86, v0, v1
	v_add_nc_u32_e32 v14, 0x384, v86
	v_add_nc_u32_e32 v15, 0x708, v86
	;; [unrolled: 1-line block ×3, first 2 shown]
	v_mad_co_u64_u32 v[0:1], null, s18, v86, 0
	s_delay_alu instid0(VALU_DEP_4) | instskip(NEXT) | instid1(VALU_DEP_4)
	v_mad_co_u64_u32 v[2:3], null, s18, v14, 0
	v_mad_co_u64_u32 v[4:5], null, s18, v15, 0
	s_delay_alu instid0(VALU_DEP_4)
	v_mad_co_u64_u32 v[6:7], null, s18, v113, 0
	s_wait_kmcnt 0x0
	v_mul_lo_u32 v16, s11, v50
	v_mul_lo_u32 v17, s10, v51
	v_mad_co_u64_u32 v[8:9], null, s10, v50, 0
	v_mad_co_u64_u32 v[12:13], null, s19, v86, v[1:2]
	v_dual_mov_b32 v1, v3 :: v_dual_add_nc_u32 v18, 0x3de, v86
	v_mov_b32_e32 v3, v5
	v_dual_mov_b32 v5, v7 :: v_dual_add_nc_u32 v114, 0xb4, v86
	v_add3_u32 v9, v9, v17, v16
	s_delay_alu instid0(VALU_DEP_4) | instskip(NEXT) | instid1(VALU_DEP_4)
	v_mad_co_u64_u32 v[13:14], null, s19, v14, v[1:2]
	v_mad_co_u64_u32 v[14:15], null, s19, v15, v[3:4]
	s_delay_alu instid0(VALU_DEP_3) | instskip(SKIP_3) | instid1(VALU_DEP_4)
	v_lshlrev_b64_e32 v[7:8], 3, v[8:9]
	v_mad_co_u64_u32 v[15:16], null, s19, v113, v[5:6]
	v_dual_mov_b32 v1, v12 :: v_dual_add_nc_u32 v22, 0x438, v86
	v_dual_mov_b32 v3, v13 :: v_dual_add_nc_u32 v24, 0x7bc, v86
	v_add_co_u32 v7, s0, s4, v7
	s_wait_alu 0xf1ff
	v_add_co_ci_u32_e64 v8, s0, s5, v8, s0
	v_add_nc_u32_e32 v30, 0x816, v86
	s_delay_alu instid0(VALU_DEP_3)
	v_add_co_u32 v20, s0, v7, v10
	v_mov_b32_e32 v7, v15
	v_lshlrev_b64_e32 v[0:1], 3, v[0:1]
	v_dual_mov_b32 v5, v14 :: v_dual_add_nc_u32 v28, 0x492, v86
	v_mad_co_u64_u32 v[26:27], null, s18, v30, 0
	v_add_nc_u32_e32 v19, 0x762, v86
	s_wait_alu 0xf1ff
	v_add_co_ci_u32_e64 v21, s0, v8, v11, s0
	v_lshlrev_b64_e32 v[2:3], 3, v[2:3]
	v_add_co_u32 v0, s0, v20, v0
	v_mad_co_u64_u32 v[8:9], null, s18, v18, 0
	v_lshlrev_b64_e32 v[4:5], 3, v[4:5]
	v_mad_co_u64_u32 v[10:11], null, s18, v19, 0
	s_wait_alu 0xf1ff
	v_add_co_ci_u32_e64 v1, s0, v21, v1, s0
	v_add_co_u32 v2, s0, v20, v2
	s_wait_alu 0xf1ff
	v_add_co_ci_u32_e64 v3, s0, v21, v3, s0
	v_add_co_u32 v12, s0, v20, v4
	s_wait_alu 0xf1ff
	v_add_co_ci_u32_e64 v13, s0, v21, v5, s0
	v_lshlrev_b64_e32 v[4:5], 3, v[6:7]
	v_mad_co_u64_u32 v[6:7], null, s19, v18, v[9:10]
	v_mov_b32_e32 v7, v11
	v_mad_co_u64_u32 v[14:15], null, s18, v114, 0
	s_delay_alu instid0(VALU_DEP_4)
	v_add_co_u32 v16, s0, v20, v4
	s_wait_alu 0xf1ff
	v_add_co_ci_u32_e64 v17, s0, v21, v5, s0
	v_dual_mov_b32 v9, v6 :: v_dual_add_nc_u32 v88, 0x168, v86
	v_mad_co_u64_u32 v[6:7], null, s19, v19, v[7:8]
	v_mov_b32_e32 v7, v15
	v_mad_co_u64_u32 v[18:19], null, s18, v22, 0
	s_clause 0x3
	global_load_b64 v[4:5], v[0:1], off
	global_load_b64 v[46:47], v[2:3], off
	;; [unrolled: 1-line block ×4, first 2 shown]
	v_lshlrev_b64_e32 v[0:1], 3, v[8:9]
	v_mad_co_u64_u32 v[7:8], null, s19, v114, v[7:8]
	v_mov_b32_e32 v11, v6
	v_dual_mov_b32 v6, v19 :: v_dual_add_nc_u32 v87, 0x10e, v86
	s_delay_alu instid0(VALU_DEP_4) | instskip(NEXT) | instid1(VALU_DEP_3)
	v_add_co_u32 v0, s0, v20, v0
	v_lshlrev_b64_e32 v[8:9], 3, v[10:11]
	v_dual_mov_b32 v15, v7 :: v_dual_add_nc_u32 v38, 0x870, v86
	s_delay_alu instid0(VALU_DEP_4)
	v_mad_co_u64_u32 v[6:7], null, s19, v22, v[6:7]
	s_wait_alu 0xf1ff
	v_add_co_ci_u32_e64 v1, s0, v21, v1, s0
	v_mad_co_u64_u32 v[16:17], null, s18, v24, 0
	v_add_co_u32 v7, s0, v20, v8
	s_wait_alu 0xf1ff
	v_add_co_ci_u32_e64 v8, s0, v21, v9, s0
	v_lshlrev_b64_e32 v[9:10], 3, v[14:15]
	v_mad_co_u64_u32 v[22:23], null, s18, v87, 0
	v_mad_co_u64_u32 v[34:35], null, s18, v38, 0
	v_dual_mov_b32 v19, v6 :: v_dual_mov_b32 v6, v17
	s_delay_alu instid0(VALU_DEP_4) | instskip(SKIP_2) | instid1(VALU_DEP_3)
	v_add_co_u32 v12, s0, v20, v9
	s_wait_alu 0xf1ff
	v_add_co_ci_u32_e64 v13, s0, v21, v10, s0
	v_lshlrev_b64_e32 v[9:10], 3, v[18:19]
	v_mov_b32_e32 v11, v23
	v_mad_co_u64_u32 v[14:15], null, s19, v24, v[6:7]
	v_mad_co_u64_u32 v[18:19], null, s18, v28, 0
	s_delay_alu instid0(VALU_DEP_3)
	v_mad_co_u64_u32 v[23:24], null, s19, v87, v[11:12]
	v_add_co_u32 v24, s0, v20, v9
	s_wait_alu 0xf1ff
	v_add_co_ci_u32_e64 v25, s0, v21, v10, s0
	v_dual_mov_b32 v17, v14 :: v_dual_add_nc_u32 v90, 0x21c, v86
	s_clause 0x3
	global_load_b64 v[14:15], v[0:1], off
	global_load_b64 v[10:11], v[7:8], off
	;; [unrolled: 1-line block ×4, first 2 shown]
	v_mov_b32_e32 v6, v19
	v_mad_co_u64_u32 v[24:25], null, s18, v88, 0
	v_lshlrev_b64_e32 v[0:1], 3, v[16:17]
	v_lshlrev_b64_e32 v[16:17], 3, v[22:23]
	s_delay_alu instid0(VALU_DEP_4) | instskip(SKIP_1) | instid1(VALU_DEP_4)
	v_mad_co_u64_u32 v[28:29], null, s19, v28, v[6:7]
	v_dual_mov_b32 v6, v27 :: v_dual_add_nc_u32 v89, 0x1c2, v86
	v_add_co_u32 v0, s0, v20, v0
	s_wait_alu 0xf1ff
	v_add_co_ci_u32_e64 v1, s0, v21, v1, s0
	s_delay_alu instid0(VALU_DEP_3) | instskip(SKIP_4) | instid1(VALU_DEP_4)
	v_mad_co_u64_u32 v[6:7], null, s19, v30, v[6:7]
	v_dual_mov_b32 v19, v28 :: v_dual_add_nc_u32 v28, 0x4ec, v86
	v_add_co_u32 v16, s0, v20, v16
	s_wait_alu 0xf1ff
	v_add_co_ci_u32_e64 v17, s0, v21, v17, s0
	v_dual_mov_b32 v27, v6 :: v_dual_mov_b32 v6, v25
	v_lshlrev_b64_e32 v[18:19], 3, v[18:19]
	v_mad_co_u64_u32 v[30:31], null, s18, v28, 0
	v_mad_co_u64_u32 v[36:37], null, s18, v89, 0
	s_delay_alu instid0(VALU_DEP_4) | instskip(NEXT) | instid1(VALU_DEP_4)
	v_mad_co_u64_u32 v[6:7], null, s19, v88, v[6:7]
	v_add_co_u32 v22, s0, v20, v18
	s_wait_alu 0xf1ff
	v_add_co_ci_u32_e64 v23, s0, v21, v19, s0
	v_lshlrev_b64_e32 v[18:19], 3, v[26:27]
	s_delay_alu instid0(VALU_DEP_4) | instskip(SKIP_4) | instid1(VALU_DEP_4)
	v_dual_mov_b32 v25, v6 :: v_dual_add_nc_u32 v58, 0x5fa, v86
	v_mov_b32_e32 v6, v31
	v_add_nc_u32_e32 v92, 0x2d0, v86
	v_add_nc_u32_e32 v39, 0x8ca, v86
	v_add_co_u32 v32, s0, v20, v18
	v_mad_co_u64_u32 v[6:7], null, s19, v28, v[6:7]
	s_wait_alu 0xf1ff
	v_add_co_ci_u32_e64 v33, s0, v21, v19, s0
	s_clause 0x3
	global_load_b64 v[28:29], v[0:1], off
	global_load_b64 v[18:19], v[16:17], off
	;; [unrolled: 1-line block ×4, first 2 shown]
	v_dual_mov_b32 v0, v35 :: v_dual_mov_b32 v1, v37
	v_lshlrev_b64_e32 v[16:17], 3, v[24:25]
	v_mov_b32_e32 v31, v6
	v_mad_co_u64_u32 v[40:41], null, s18, v90, 0
	s_delay_alu instid0(VALU_DEP_4) | instskip(SKIP_1) | instid1(VALU_DEP_4)
	v_mad_co_u64_u32 v[6:7], null, s19, v38, v[0:1]
	v_add_nc_u32_e32 v38, 0x546, v86
	v_lshlrev_b64_e32 v[24:25], 3, v[30:31]
	v_add_co_u32 v16, s0, v20, v16
	s_wait_alu 0xf1ff
	v_add_co_ci_u32_e64 v17, s0, v21, v17, s0
	v_mov_b32_e32 v35, v6
	v_mad_co_u64_u32 v[6:7], null, s18, v38, 0
	v_mad_co_u64_u32 v[32:33], null, s18, v39, 0
	v_add_nc_u32_e32 v91, 0x276, v86
	v_add_nc_u32_e32 v59, 0x97e, v86
	;; [unrolled: 1-line block ×5, first 2 shown]
	v_mad_co_u64_u32 v[54:55], null, s18, v91, 0
	v_mad_co_u64_u32 v[56:57], null, s18, v59, 0
	s_wait_loadcnt 0x8
	v_mad_co_u64_u32 v[0:1], null, s19, v89, v[1:2]
	s_delay_alu instid0(VALU_DEP_1)
	v_mov_b32_e32 v37, v0
	v_add_co_u32 v0, s0, v20, v24
	s_wait_alu 0xf1ff
	v_add_co_ci_u32_e64 v1, s0, v21, v25, s0
	v_lshlrev_b64_e32 v[24:25], 3, v[34:35]
	v_lshlrev_b64_e32 v[30:31], 3, v[36:37]
	s_delay_alu instid0(VALU_DEP_2) | instskip(SKIP_1) | instid1(VALU_DEP_3)
	v_add_co_u32 v24, s0, v20, v24
	s_wait_alu 0xf1ff
	v_add_co_ci_u32_e64 v25, s0, v21, v25, s0
	s_delay_alu instid0(VALU_DEP_3)
	v_add_co_u32 v30, s0, v20, v30
	s_wait_alu 0xf1ff
	v_add_co_ci_u32_e64 v31, s0, v21, v31, s0
	s_wait_loadcnt 0x5
	v_mad_co_u64_u32 v[34:35], null, s19, v38, v[7:8]
	v_mov_b32_e32 v35, v41
	s_delay_alu instid0(VALU_DEP_1) | instskip(NEXT) | instid1(VALU_DEP_3)
	v_mad_co_u64_u32 v[41:42], null, s19, v90, v[35:36]
	v_mov_b32_e32 v7, v34
	v_mad_co_u64_u32 v[33:34], null, s19, v39, v[33:34]
	s_clause 0x3
	global_load_b64 v[34:35], v[16:17], off
	global_load_b64 v[38:39], v[0:1], off
	;; [unrolled: 1-line block ×4, first 2 shown]
	v_add_nc_u32_e32 v42, 0x5a0, v86
	v_lshlrev_b64_e32 v[6:7], 3, v[6:7]
	v_lshlrev_b64_e32 v[30:31], 3, v[40:41]
	v_add_nc_u32_e32 v40, 0x924, v86
	s_delay_alu instid0(VALU_DEP_4) | instskip(SKIP_1) | instid1(VALU_DEP_3)
	v_mad_co_u64_u32 v[16:17], null, s18, v42, 0
	v_lshlrev_b64_e32 v[24:25], 3, v[32:33]
	v_mad_co_u64_u32 v[52:53], null, s18, v40, 0
	v_add_co_u32 v6, s0, v20, v6
	s_wait_alu 0xf1ff
	v_add_co_ci_u32_e64 v7, s0, v21, v7, s0
	s_delay_alu instid0(VALU_DEP_4)
	v_add_co_u32 v24, s0, v20, v24
	s_wait_alu 0xf1ff
	v_add_co_ci_u32_e64 v25, s0, v21, v25, s0
	v_add_co_u32 v30, s0, v20, v30
	s_wait_alu 0xf1ff
	v_add_co_ci_u32_e64 v31, s0, v21, v31, s0
	s_wait_loadcnt 0x6
	v_mad_co_u64_u32 v[32:33], null, s19, v42, v[17:18]
	v_mov_b32_e32 v33, v55
	s_delay_alu instid0(VALU_DEP_2) | instskip(NEXT) | instid1(VALU_DEP_1)
	v_dual_mov_b32 v17, v32 :: v_dual_mov_b32 v32, v53
	v_lshlrev_b64_e32 v[16:17], 3, v[16:17]
	s_delay_alu instid0(VALU_DEP_2) | instskip(NEXT) | instid1(VALU_DEP_2)
	v_mad_co_u64_u32 v[40:41], null, s19, v40, v[32:33]
	v_add_co_u32 v16, s0, v20, v16
	s_wait_alu 0xf1ff
	s_delay_alu instid0(VALU_DEP_3) | instskip(NEXT) | instid1(VALU_DEP_3)
	v_add_co_ci_u32_e64 v17, s0, v21, v17, s0
	v_mov_b32_e32 v53, v40
	s_clause 0x3
	global_load_b64 v[68:69], v[6:7], off
	global_load_b64 v[42:43], v[24:25], off
	;; [unrolled: 1-line block ×4, first 2 shown]
	v_mov_b32_e32 v25, v57
	v_lshlrev_b64_e32 v[16:17], 3, v[52:53]
	s_delay_alu instid0(VALU_DEP_1) | instskip(SKIP_1) | instid1(VALU_DEP_2)
	v_add_co_u32 v16, s0, v20, v16
	s_wait_alu 0xf1ff
	v_add_co_ci_u32_e64 v17, s0, v21, v17, s0
	s_wait_loadcnt 0x7
	v_mad_co_u64_u32 v[32:33], null, s19, v91, v[33:34]
	s_delay_alu instid0(VALU_DEP_1) | instskip(SKIP_1) | instid1(VALU_DEP_2)
	v_mov_b32_e32 v55, v32
	v_mad_co_u64_u32 v[32:33], null, s18, v58, 0
	v_lshlrev_b64_e32 v[30:31], 3, v[54:55]
	s_delay_alu instid0(VALU_DEP_2) | instskip(NEXT) | instid1(VALU_DEP_1)
	v_mov_b32_e32 v24, v33
	v_mad_co_u64_u32 v[52:53], null, s19, v58, v[24:25]
	v_mad_co_u64_u32 v[24:25], null, s19, v59, v[25:26]
	;; [unrolled: 1-line block ×3, first 2 shown]
	v_add_nc_u32_e32 v59, 0x654, v86
	s_delay_alu instid0(VALU_DEP_4) | instskip(NEXT) | instid1(VALU_DEP_4)
	v_mov_b32_e32 v33, v52
	v_mov_b32_e32 v57, v24
	v_add_co_u32 v24, s0, v20, v30
	s_wait_alu 0xf1ff
	v_add_co_ci_u32_e64 v25, s0, v21, v31, s0
	v_lshlrev_b64_e32 v[31:32], 3, v[32:33]
	v_mov_b32_e32 v30, v54
	v_lshlrev_b64_e32 v[54:55], 3, v[56:57]
	s_delay_alu instid0(VALU_DEP_2)
	v_mad_co_u64_u32 v[56:57], null, s19, v92, v[30:31]
	v_mad_co_u64_u32 v[57:58], null, s18, v59, 0
	v_add_co_u32 v30, s0, v20, v31
	s_wait_alu 0xf1ff
	v_add_co_ci_u32_e64 v31, s0, v21, v32, s0
	v_add_co_u32 v32, s0, v20, v54
	s_wait_alu 0xf1ff
	v_add_co_ci_u32_e64 v33, s0, v21, v55, s0
	v_mov_b32_e32 v54, v56
	v_mov_b32_e32 v52, v58
	v_mad_co_u64_u32 v[55:56], null, s18, v61, 0
	s_clause 0x3
	global_load_b64 v[76:77], v[16:17], off
	global_load_b64 v[16:17], v[24:25], off
	;; [unrolled: 1-line block ×4, first 2 shown]
	v_mad_co_u64_u32 v[32:33], null, s18, v62, 0
	v_mad_co_u64_u32 v[58:59], null, s19, v59, v[52:53]
	;; [unrolled: 1-line block ×3, first 2 shown]
	v_mov_b32_e32 v24, v56
	v_lshlrev_b64_e32 v[30:31], 3, v[53:54]
	s_delay_alu instid0(VALU_DEP_4) | instskip(NEXT) | instid1(VALU_DEP_3)
	v_lshlrev_b64_e32 v[57:58], 3, v[57:58]
	v_mad_co_u64_u32 v[24:25], null, s19, v61, v[24:25]
	v_mov_b32_e32 v25, v60
	v_add_nc_u32_e32 v61, 0xa32, v86
	v_add_co_u32 v30, s0, v20, v30
	s_wait_alu 0xf1ff
	v_add_co_ci_u32_e64 v31, s0, v21, v31, s0
	v_mad_co_u64_u32 v[52:53], null, s19, v93, v[25:26]
	v_mad_co_u64_u32 v[53:54], null, s18, v61, 0
	v_dual_mov_b32 v25, v33 :: v_dual_mov_b32 v56, v24
	v_add_co_u32 v57, s0, v20, v57
	s_delay_alu instid0(VALU_DEP_4) | instskip(NEXT) | instid1(VALU_DEP_3)
	v_mov_b32_e32 v60, v52
	v_mad_co_u64_u32 v[24:25], null, s19, v62, v[25:26]
	v_mov_b32_e32 v25, v54
	v_lshlrev_b64_e32 v[54:55], 3, v[55:56]
	s_wait_alu 0xf1ff
	v_add_co_ci_u32_e64 v58, s0, v21, v58, s0
	v_lshlrev_b64_e32 v[59:60], 3, v[59:60]
	v_mad_co_u64_u32 v[61:62], null, s19, v61, v[25:26]
	v_mov_b32_e32 v33, v24
	v_add_co_u32 v62, s0, v20, v54
	s_wait_alu 0xf1ff
	v_add_co_ci_u32_e64 v63, s0, v21, v55, s0
	s_delay_alu instid0(VALU_DEP_3) | instskip(SKIP_4) | instid1(VALU_DEP_3)
	v_lshlrev_b64_e32 v[24:25], 3, v[32:33]
	v_mov_b32_e32 v54, v61
	v_add_co_u32 v32, s0, v20, v59
	s_wait_alu 0xf1ff
	v_add_co_ci_u32_e64 v33, s0, v21, v60, s0
	v_lshlrev_b64_e32 v[52:53], 3, v[53:54]
	v_add_co_u32 v54, s0, v20, v24
	s_wait_alu 0xf1ff
	v_add_co_ci_u32_e64 v55, s0, v21, v25, s0
	s_delay_alu instid0(VALU_DEP_3)
	v_add_co_u32 v52, s0, v20, v52
	s_wait_alu 0xf1ff
	v_add_co_ci_u32_e64 v53, s0, v21, v53, s0
	s_clause 0x5
	global_load_b64 v[24:25], v[30:31], off
	global_load_b64 v[78:79], v[57:58], off
	;; [unrolled: 1-line block ×6, first 2 shown]
.LBB0_13:
	s_or_b32 exec_lo, exec_lo, s1
	v_dual_add_f32 v52, v44, v46 :: v_dual_add_f32 v53, v46, v4
	v_sub_f32_e32 v54, v47, v45
	v_sub_f32_e32 v84, v46, v44
	s_wait_loadcnt 0x10
	v_add_f32_e32 v58, v38, v34
	v_dual_fmac_f32 v4, -0.5, v52 :: v_dual_add_f32 v55, v10, v14
	v_dual_add_f32 v52, v47, v5 :: v_dual_add_f32 v47, v45, v47
	s_delay_alu instid0(VALU_DEP_2) | instskip(SKIP_2) | instid1(VALU_DEP_3)
	v_dual_add_f32 v53, v44, v53 :: v_dual_fmamk_f32 v56, v54, 0x3f5db3d7, v4
	v_lshl_add_u32 v97, v86, 2, 0
	s_wait_loadcnt 0xa
	v_dual_add_f32 v62, v40, v6 :: v_dual_fmac_f32 v5, -0.5, v47
	v_dual_fmac_f32 v4, 0xbf5db3d7, v54 :: v_dual_add_f32 v85, v45, v52
	v_dual_add_f32 v47, v14, v2 :: v_dual_fmac_f32 v2, -0.5, v55
	v_dual_sub_f32 v54, v15, v11 :: v_dual_add_f32 v45, v28, v12
	s_delay_alu instid0(VALU_DEP_2) | instskip(NEXT) | instid1(VALU_DEP_2)
	v_dual_add_f32 v59, v68, v0 :: v_dual_add_f32 v44, v10, v47
	v_dual_add_f32 v47, v12, v8 :: v_dual_fmamk_f32 v46, v54, 0x3f5db3d7, v2
	v_fmac_f32_e32 v2, 0xbf5db3d7, v54
	v_add_f32_e32 v54, v26, v18
	v_fmac_f32_e32 v8, -0.5, v45
	v_dual_sub_f32 v45, v13, v29 :: v_dual_add_f32 v52, v22, v26
	s_wait_loadcnt 0x7
	v_add_f32_e32 v63, v74, v16
	s_wait_loadcnt 0x1
	v_add_f32_e32 v67, v32, v20
	v_mad_u32_u24 v123, v86, 12, 0
	v_fmamk_f32 v55, v45, 0x3f5db3d7, v8
	v_fmac_f32_e32 v18, -0.5, v52
	v_sub_f32_e32 v52, v27, v23
	v_fmac_f32_e32 v8, 0xbf5db3d7, v45
	v_sub_f32_e32 v10, v14, v10
	s_load_b64 s[2:3], s[2:3], 0x0
	v_add_f32_e32 v47, v28, v47
	v_fmamk_f32 v57, v52, 0x3f5db3d7, v18
	v_add_f32_e32 v45, v22, v54
	v_add_f32_e32 v54, v36, v38
	v_lshlrev_b32_e32 v99, 3, v90
	v_mad_i32_i24 v124, v113, 12, 0
	ds_store_2addr_b32 v123, v53, v56 offset1:1
	ds_store_b32 v123, v4 offset:8
	v_dual_fmac_f32 v34, -0.5, v54 :: v_dual_add_nc_u32 v103, 0x1200, v97
	v_sub_f32_e32 v54, v39, v37
	v_add_nc_u32_e32 v105, 0x1c00, v97
	v_mad_i32_i24 v4, v114, 12, 0
	v_add_nc_u32_e32 v119, 0x400, v97
	v_add_nc_u32_e32 v111, 0x1400, v97
	v_fmamk_f32 v60, v54, 0x3f5db3d7, v34
	v_fmac_f32_e32 v34, 0xbf5db3d7, v54
	v_dual_add_f32 v54, v42, v59 :: v_dual_add_f32 v59, v76, v40
	v_sub_f32_e32 v12, v12, v28
	ds_store_2addr_b32 v124, v44, v46 offset1:1
	ds_store_b32 v124, v2 offset:8
	v_mad_i32_i24 v94, v87, 12, 0
	ds_store_2addr_b32 v4, v47, v55 offset1:1
	ds_store_b32 v4, v8 offset:8
	v_dual_fmac_f32 v6, -0.5, v59 :: v_dual_sub_f32 v59, v41, v77
	v_fmac_f32_e32 v18, 0xbf5db3d7, v52
	v_add_f32_e32 v52, v42, v68
	v_mad_i32_i24 v8, v89, 12, 0
	v_mad_i32_i24 v95, v90, 12, 0
	v_fmamk_f32 v64, v59, 0x3f5db3d7, v6
	v_fmac_f32_e32 v6, 0xbf5db3d7, v59
	v_fmac_f32_e32 v0, -0.5, v52
	v_sub_f32_e32 v52, v69, v43
	v_add_f32_e32 v59, v72, v63
	v_add_f32_e32 v63, v70, v78
	v_mad_i32_i24 v96, v93, 12, 0
	s_delay_alu instid0(VALU_DEP_4)
	v_dual_fmamk_f32 v61, v52, 0x3f5db3d7, v0 :: v_dual_lshlrev_b32 v98, 3, v93
	v_fmac_f32_e32 v0, 0xbf5db3d7, v52
	v_dual_add_f32 v52, v72, v74 :: v_dual_add_nc_u32 v107, 0x2400, v97
	v_add_f32_e32 v62, v76, v62
	v_lshlrev_b32_e32 v102, 3, v87
	v_add_f32_e32 v58, v36, v58
	s_delay_alu instid0(VALU_DEP_4)
	v_fmac_f32_e32 v16, -0.5, v52
	v_sub_f32_e32 v52, v75, v73
	v_mad_i32_i24 v2, v88, 12, 0
	v_sub_nc_u32_e32 v116, v96, v98
	v_sub_nc_u32_e32 v117, v95, v99
	;; [unrolled: 1-line block ×3, first 2 shown]
	v_fmamk_f32 v65, v52, 0x3f5db3d7, v16
	v_fmac_f32_e32 v16, 0xbf5db3d7, v52
	s_wait_loadcnt 0x0
	v_add_f32_e32 v52, v30, v32
	v_lshl_add_u32 v101, v113, 2, 0
	v_lshl_add_u32 v109, v114, 2, 0
	v_add_nc_u32_e32 v100, 0x1000, v97
	v_add_nc_u32_e32 v104, 0x1800, v97
	v_fmac_f32_e32 v20, -0.5, v52
	v_sub_f32_e32 v52, v33, v31
	v_add_f32_e32 v66, v78, v24
	v_fmac_f32_e32 v24, -0.5, v63
	v_dual_sub_f32 v63, v79, v71 :: v_dual_add_nc_u32 v106, 0x2000, v97
	v_add_nc_u32_e32 v118, 0x800, v97
	v_add_nc_u32_e32 v108, 0xc00, v97
	;; [unrolled: 1-line block ×3, first 2 shown]
	s_delay_alu instid0(VALU_DEP_4)
	v_fmamk_f32 v80, v63, 0x3f5db3d7, v24
	v_fmac_f32_e32 v24, 0xbf5db3d7, v63
	v_add_f32_e32 v63, v30, v67
	ds_store_2addr_b32 v94, v45, v57 offset1:1
	ds_store_b32 v94, v18 offset:8
	ds_store_2addr_b32 v2, v58, v60 offset1:1
	ds_store_b32 v2, v34 offset:8
	;; [unrolled: 2-line block ×3, first 2 shown]
	v_mad_i32_i24 v0, v91, 12, 0
	ds_store_2addr_b32 v95, v62, v64 offset1:1
	ds_store_b32 v95, v6 offset:8
	v_fmamk_f32 v6, v84, 0xbf5db3d7, v5
	v_fmac_f32_e32 v5, 0x3f5db3d7, v84
	v_dual_fmamk_f32 v67, v52, 0x3f5db3d7, v20 :: v_dual_add_f32 v66, v70, v66
	v_mad_i32_i24 v18, v92, 12, 0
	v_fmac_f32_e32 v20, 0xbf5db3d7, v52
	ds_store_2addr_b32 v0, v59, v65 offset1:1
	ds_store_b32 v0, v16 offset:8
	ds_store_2addr_b32 v18, v66, v80 offset1:1
	ds_store_b32 v18, v24 offset:8
	;; [unrolled: 2-line block ×3, first 2 shown]
	global_wb scope:SCOPE_SE
	s_wait_dscnt 0x0
	s_wait_kmcnt 0x0
	s_barrier_signal -1
	s_barrier_wait -1
	global_inv scope:SCOPE_SE
	ds_load_b32 v129, v116
	ds_load_b32 v122, v97
	;; [unrolled: 1-line block ×3, first 2 shown]
	v_add_nc_u32_e32 v112, 0x2600, v97
	ds_load_b32 v130, v117
	ds_load_b32 v131, v115
	;; [unrolled: 1-line block ×3, first 2 shown]
	ds_load_2addr_b32 v[66:67], v100 offset0:56 offset1:146
	ds_load_2addr_b32 v[62:63], v103 offset0:108 offset1:198
	;; [unrolled: 1-line block ×12, first 2 shown]
	global_wb scope:SCOPE_SE
	s_wait_dscnt 0x0
	s_barrier_signal -1
	s_barrier_wait -1
	global_inv scope:SCOPE_SE
	v_add_f32_e32 v16, v11, v15
	ds_store_2addr_b32 v123, v85, v6 offset1:1
	ds_store_b32 v123, v5 offset:8
	v_dual_add_f32 v6, v29, v13 :: v_dual_add_f32 v5, v15, v3
	v_add_f32_e32 v13, v13, v9
	v_dual_fmac_f32 v3, -0.5, v16 :: v_dual_and_b32 v84, 0xff, v113
	s_delay_alu instid0(VALU_DEP_3) | instskip(NEXT) | instid1(VALU_DEP_4)
	v_fmac_f32_e32 v9, -0.5, v6
	v_add_f32_e32 v5, v11, v5
	v_and_b32_e32 v85, 0xff, v86
	s_delay_alu instid0(VALU_DEP_4)
	v_fmamk_f32 v6, v10, 0xbf5db3d7, v3
	v_dual_fmac_f32 v3, 0x3f5db3d7, v10 :: v_dual_add_f32 v10, v29, v13
	v_fmamk_f32 v11, v12, 0xbf5db3d7, v9
	v_fmac_f32_e32 v9, 0x3f5db3d7, v12
	ds_store_2addr_b32 v124, v5, v6 offset1:1
	ds_store_b32 v124, v3 offset:8
	v_add_f32_e32 v3, v23, v27
	ds_store_2addr_b32 v4, v10, v11 offset1:1
	ds_store_b32 v4, v9 offset:8
	v_add_f32_e32 v5, v37, v39
	v_add_f32_e32 v11, v73, v75
	v_mul_lo_u16 v14, 0xab, v84
	v_dual_sub_f32 v6, v26, v22 :: v_dual_add_f32 v13, v31, v33
	v_sub_f32_e32 v9, v38, v36
	v_sub_f32_e32 v12, v78, v70
	s_delay_alu instid0(VALU_DEP_4)
	v_lshrrev_b16 v132, 9, v14
	v_sub_f32_e32 v14, v32, v30
	v_dual_add_f32 v10, v75, v17 :: v_dual_fmac_f32 v17, -0.5, v11
	v_add_f32_e32 v4, v27, v19
	v_fmac_f32_e32 v19, -0.5, v3
	v_add_f32_e32 v3, v39, v35
	s_delay_alu instid0(VALU_DEP_3) | instskip(NEXT) | instid1(VALU_DEP_3)
	v_dual_fmac_f32 v35, -0.5, v5 :: v_dual_add_f32 v4, v23, v4
	v_fmamk_f32 v5, v6, 0xbf5db3d7, v19
	v_fmac_f32_e32 v19, 0x3f5db3d7, v6
	s_delay_alu instid0(VALU_DEP_4) | instskip(NEXT) | instid1(VALU_DEP_4)
	v_add_f32_e32 v3, v37, v3
	v_fmamk_f32 v6, v9, 0xbf5db3d7, v35
	v_fmac_f32_e32 v35, 0x3f5db3d7, v9
	ds_store_2addr_b32 v94, v4, v5 offset1:1
	ds_store_b32 v94, v19 offset:8
	ds_store_2addr_b32 v2, v3, v6 offset1:1
	ds_store_b32 v2, v35 offset:8
	v_add_f32_e32 v2, v43, v69
	v_add_f32_e32 v6, v77, v41
	;; [unrolled: 1-line block ×4, first 2 shown]
	v_sub_f32_e32 v5, v68, v42
	v_sub_f32_e32 v9, v40, v76
	v_dual_fmac_f32 v1, -0.5, v2 :: v_dual_sub_f32 v2, v74, v72
	v_fmac_f32_e32 v7, -0.5, v6
	v_add_f32_e32 v6, v73, v10
	v_add_f32_e32 v3, v77, v3
	s_delay_alu instid0(VALU_DEP_4)
	v_fmamk_f32 v10, v5, 0xbf5db3d7, v1
	v_fmac_f32_e32 v1, 0x3f5db3d7, v5
	v_fmamk_f32 v5, v9, 0xbf5db3d7, v7
	v_fmac_f32_e32 v7, 0x3f5db3d7, v9
	v_add_f32_e32 v9, v79, v25
	v_fmamk_f32 v11, v2, 0xbf5db3d7, v17
	v_dual_fmac_f32 v17, 0x3f5db3d7, v2 :: v_dual_add_f32 v2, v71, v79
	v_dual_add_f32 v4, v43, v4 :: v_dual_and_b32 v79, 0xffff, v114
	s_delay_alu instid0(VALU_DEP_4) | instskip(NEXT) | instid1(VALU_DEP_3)
	v_add_f32_e32 v9, v71, v9
	v_dual_fmac_f32 v25, -0.5, v2 :: v_dual_add_f32 v2, v33, v21
	v_fmac_f32_e32 v21, -0.5, v13
	s_delay_alu instid0(VALU_DEP_4)
	v_mul_u32_u24_e32 v13, 0xaaab, v79
	ds_store_2addr_b32 v8, v4, v10 offset1:1
	ds_store_b32 v8, v1 offset:8
	ds_store_2addr_b32 v95, v3, v5 offset1:1
	ds_store_b32 v95, v7 offset:8
	v_fmamk_f32 v15, v12, 0xbf5db3d7, v25
	v_fmac_f32_e32 v25, 0x3f5db3d7, v12
	v_mul_lo_u16 v12, v132, 3
	v_lshrrev_b32_e32 v126, 17, v13
	v_fmamk_f32 v13, v14, 0xbf5db3d7, v21
	v_fmac_f32_e32 v21, 0x3f5db3d7, v14
	v_add_f32_e32 v2, v31, v2
	v_sub_nc_u16 v12, v113, v12
	v_mul_lo_u16 v14, v126, 3
	s_delay_alu instid0(VALU_DEP_2) | instskip(NEXT) | instid1(VALU_DEP_2)
	v_and_b32_e32 v133, 0xff, v12
	v_sub_nc_u16 v1, v114, v14
	ds_store_2addr_b32 v0, v6, v11 offset1:1
	ds_store_b32 v0, v17 offset:8
	v_mul_lo_u16 v0, 0xab, v85
	ds_store_2addr_b32 v18, v9, v15 offset1:1
	ds_store_b32 v18, v25 offset:8
	ds_store_2addr_b32 v96, v2, v13 offset1:1
	ds_store_b32 v96, v21 offset:8
	v_and_b32_e32 v128, 0xffff, v1
	v_mul_u32_u24_e32 v1, 9, v133
	v_lshrrev_b16 v134, 9, v0
	global_wb scope:SCOPE_SE
	s_wait_dscnt 0x0
	s_barrier_signal -1
	v_mul_u32_u24_e32 v0, 9, v128
	v_lshlrev_b32_e32 v70, 3, v1
	s_barrier_wait -1
	global_inv scope:SCOPE_SE
	v_mul_lo_u16 v1, v134, 3
	v_lshlrev_b32_e32 v72, 3, v0
	s_clause 0x1
	global_load_b128 v[139:142], v70, s[8:9]
	global_load_b128 v[16:19], v72, s[8:9]
	v_sub_nc_u16 v0, v86, v1
	s_delay_alu instid0(VALU_DEP_1) | instskip(NEXT) | instid1(VALU_DEP_1)
	v_and_b32_e32 v135, 0xff, v0
	v_mul_u32_u24_e32 v0, 9, v135
	s_delay_alu instid0(VALU_DEP_1)
	v_lshlrev_b32_e32 v68, 3, v0
	s_clause 0xc
	global_load_b128 v[4:7], v68, s[8:9]
	global_load_b128 v[12:15], v68, s[8:9] offset:16
	global_load_b128 v[8:11], v70, s[8:9] offset:16
	;; [unrolled: 1-line block ×9, first 2 shown]
	global_load_b64 v[68:69], v68, s[8:9] offset:64
	global_load_b64 v[70:71], v70, s[8:9] offset:64
	;; [unrolled: 1-line block ×3, first 2 shown]
	ds_load_2addr_b32 v[143:144], v119 offset0:104 offset1:194
	ds_load_2addr_b32 v[77:78], v118 offset0:118 offset1:208
	ds_load_b32 v137, v117
	ds_load_b32 v136, v116
	;; [unrolled: 1-line block ×3, first 2 shown]
	s_wait_loadcnt_dscnt 0xe04
	v_dual_mul_f32 v125, v80, v142 :: v_dual_mul_f32 v74, v143, v140
	s_wait_dscnt 0x3
	v_dual_mul_f32 v124, v82, v140 :: v_dual_mul_f32 v75, v77, v142
	s_delay_alu instid0(VALU_DEP_2)
	v_fmac_f32_e32 v125, v77, v141
	ds_load_2addr_b32 v[76:77], v100 offset0:56 offset1:146
	v_fma_f32 v123, v82, v139, -v74
	v_fma_f32 v127, v80, v141, -v75
	ds_load_2addr_b32 v[74:75], v108 offset0:132 offset1:222
	v_fmac_f32_e32 v124, v143, v139
	s_wait_loadcnt 0xd
	v_mul_f32_e32 v139, v78, v19
	s_wait_loadcnt_dscnt 0xc02
	v_dual_mul_f32 v19, v81, v19 :: v_dual_mul_f32 v142, v138, v5
	v_mul_f32_e32 v82, v83, v17
	s_wait_loadcnt 0xb
	v_mul_f32_e32 v146, v129, v13
	v_fma_f32 v81, v81, v18, -v139
	v_dual_fmac_f32 v19, v78, v18 :: v_dual_mul_f32 v78, v131, v5
	v_mul_f32_e32 v5, v137, v7
	v_mul_f32_e32 v139, v130, v7
	v_fma_f32 v18, v131, v4, -v142
	v_fmac_f32_e32 v82, v144, v16
	v_fmac_f32_e32 v78, v138, v4
	v_mul_f32_e32 v4, v136, v13
	v_fma_f32 v131, v130, v6, -v5
	v_fmac_f32_e32 v139, v137, v6
	ds_load_2addr_b32 v[6:7], v105 offset0:8 offset1:98
	ds_load_2addr_b32 v[142:143], v111 offset0:160 offset1:250
	v_fma_f32 v129, v129, v12, -v4
	s_wait_loadcnt_dscnt 0xa03
	v_mul_f32_e32 v4, v77, v11
	v_dual_mul_f32 v11, v67, v11 :: v_dual_mul_f32 v140, v144, v17
	v_mul_f32_e32 v5, v76, v15
	v_mul_f32_e32 v130, v66, v15
	s_delay_alu instid0(VALU_DEP_3) | instskip(NEXT) | instid1(VALU_DEP_4)
	v_dual_fmac_f32 v146, v136, v12 :: v_dual_fmac_f32 v11, v77, v10
	v_fma_f32 v80, v83, v16, -v140
	ds_load_2addr_b32 v[16:17], v103 offset0:108 offset1:198
	ds_load_2addr_b32 v[140:141], v104 offset0:84 offset1:174
	v_fma_f32 v66, v66, v14, -v5
	s_wait_dscnt 0x4
	v_mul_f32_e32 v5, v74, v9
	v_fma_f32 v12, v67, v10, -v4
	v_mul_f32_e32 v67, v64, v9
	v_fmac_f32_e32 v130, v76, v14
	s_wait_loadcnt 0x9
	v_mul_f32_e32 v4, v75, v1
	v_mul_f32_e32 v76, v65, v1
	v_fma_f32 v77, v64, v8, -v5
	v_fmac_f32_e32 v67, v74, v8
	v_mul_f32_e32 v1, v62, v3
	s_wait_loadcnt_dscnt 0x702
	v_mul_f32_e32 v14, v142, v25
	ds_load_2addr_b32 v[137:138], v106 offset0:112 offset1:202
	v_mul_f32_e32 v64, v63, v21
	v_fma_f32 v65, v65, v0, -v4
	v_fmac_f32_e32 v76, v75, v0
	s_wait_loadcnt 0x6
	v_mul_f32_e32 v15, v143, v29
	v_mul_f32_e32 v0, v61, v29
	ds_load_2addr_b32 v[144:145], v110 offset0:60 offset1:150
	s_wait_dscnt 0x3
	v_mul_f32_e32 v9, v16, v3
	s_wait_dscnt 0x2
	v_dual_mul_f32 v8, v140, v23 :: v_dual_mul_f32 v5, v17, v21
	v_mul_f32_e32 v21, v58, v23
	v_fmac_f32_e32 v1, v16, v2
	v_fma_f32 v3, v62, v2, -v9
	v_dual_mul_f32 v9, v60, v25 :: v_dual_mul_f32 v16, v6, v31
	s_wait_loadcnt 0x2
	v_dual_mul_f32 v2, v56, v31 :: v_dual_mul_f32 v31, v47, v69
	v_fma_f32 v29, v58, v22, -v8
	v_fma_f32 v58, v60, v24, -v14
	v_fmac_f32_e32 v9, v142, v24
	ds_load_2addr_b32 v[24:25], v107 offset0:36 offset1:126
	v_mul_f32_e32 v4, v141, v27
	v_mul_f32_e32 v10, v59, v27
	;; [unrolled: 1-line block ×3, first 2 shown]
	v_fma_f32 v62, v63, v20, -v5
	v_fmac_f32_e32 v21, v140, v22
	v_fma_f32 v13, v59, v26, -v4
	v_fma_f32 v59, v61, v28, -v15
	v_fmac_f32_e32 v2, v6, v30
	v_fma_f32 v22, v57, v32, -v23
	v_mul_f32_e32 v23, v54, v35
	s_wait_dscnt 0x2
	v_mul_f32_e32 v6, v138, v39
	s_wait_loadcnt 0x1
	v_mul_f32_e32 v15, v44, v71
	v_mul_f32_e32 v4, v137, v35
	v_dual_mul_f32 v14, v52, v37 :: v_dual_fmac_f32 v23, v137, v34
	v_fmac_f32_e32 v64, v17, v20
	v_fma_f32 v17, v55, v38, -v6
	s_wait_dscnt 0x1
	v_mul_f32_e32 v6, v145, v41
	ds_load_b32 v83, v109
	s_wait_dscnt 0x1
	v_fmac_f32_e32 v31, v25, v68
	v_fmac_f32_e32 v10, v141, v26
	ds_load_2addr_b32 v[26:27], v112 offset0:88 offset1:178
	v_fma_f32 v35, v53, v40, -v6
	v_mul_f32_e32 v6, v25, v69
	v_mul_f32_e32 v8, v24, v43
	v_add_f32_e32 v142, v82, v76
	s_delay_alu instid0(VALU_DEP_2)
	v_fma_f32 v8, v46, v42, -v8
	s_wait_dscnt 0x0
	v_dual_fmac_f32 v15, v26, v70 :: v_dual_fmac_f32 v0, v143, v28
	v_mul_f32_e32 v28, v57, v33
	v_fma_f32 v33, v47, v68, -v6
	v_mul_f32_e32 v20, v26, v71
	v_dual_sub_f32 v47, v62, v22 :: v_dual_fmac_f32 v14, v144, v36
	s_delay_alu instid0(VALU_DEP_4)
	v_dual_fmac_f32 v28, v7, v32 :: v_dual_mul_f32 v7, v46, v43
	s_wait_loadcnt 0x0
	v_mul_f32_e32 v6, v45, v73
	v_sub_f32_e32 v43, v129, v33
	v_fma_f32 v5, v56, v30, -v16
	v_sub_f32_e32 v69, v28, v31
	v_dual_fmac_f32 v7, v24, v42 :: v_dual_mul_f32 v24, v27, v73
	v_fma_f32 v30, v54, v34, -v4
	v_sub_f32_e32 v34, v33, v22
	v_sub_f32_e32 v54, v130, v21
	v_mul_f32_e32 v4, v144, v37
	v_fma_f32 v37, v45, v72, -v24
	v_dual_sub_f32 v45, v146, v31 :: v_dual_sub_f32 v26, v129, v62
	v_sub_f32_e32 v42, v139, v23
	v_mul_f32_e32 v16, v55, v39
	v_fmac_f32_e32 v6, v27, v72
	v_sub_f32_e32 v27, v31, v28
	v_dual_add_f32 v39, v26, v34 :: v_dual_add_f32 v26, v64, v28
	v_sub_f32_e32 v24, v146, v64
	v_fma_f32 v32, v52, v36, -v4
	v_fma_f32 v36, v44, v70, -v20
	v_sub_f32_e32 v20, v131, v66
	v_fma_f32 v26, -0.5, v26, v78
	v_dual_add_f32 v44, v24, v27 :: v_dual_add_f32 v27, v18, v129
	v_sub_f32_e32 v25, v30, v29
	s_delay_alu instid0(VALU_DEP_3) | instskip(NEXT) | instid1(VALU_DEP_3)
	v_dual_add_f32 v63, v129, v33 :: v_dual_fmamk_f32 v46, v43, 0xbf737871, v26
	v_dual_add_f32 v27, v27, v62 :: v_dual_lshlrev_b32 v34, 2, v135
	v_sub_f32_e32 v60, v29, v30
	v_sub_f32_e32 v52, v64, v28
	s_delay_alu instid0(VALU_DEP_4) | instskip(NEXT) | instid1(VALU_DEP_4)
	v_dual_fmac_f32 v46, 0xbf167918, v47 :: v_dual_add_f32 v71, v77, v36
	v_dual_add_f32 v27, v27, v22 :: v_dual_fmac_f32 v26, 0x3f737871, v43
	s_delay_alu instid0(VALU_DEP_2) | instskip(NEXT) | instid1(VALU_DEP_2)
	v_dual_add_f32 v135, v124, v67 :: v_dual_fmac_f32 v46, 0x3e9e377a, v44
	v_dual_add_f32 v57, v27, v33 :: v_dual_fmac_f32 v26, 0x3f167918, v47
	s_delay_alu instid0(VALU_DEP_2)
	v_mul_f32_e32 v55, 0x3f167918, v46
	v_fmac_f32_e32 v16, v138, v38
	v_add_f32_e32 v38, v20, v25
	v_add_f32_e32 v25, v66, v29
	v_mul_f32_e32 v4, v53, v41
	v_and_b32_e32 v20, 0xffff, v134
	v_fmac_f32_e32 v26, 0x3e9e377a, v44
	s_delay_alu instid0(VALU_DEP_4) | instskip(SKIP_1) | instid1(VALU_DEP_4)
	v_fma_f32 v41, -0.5, v25, v122
	v_add_f32_e32 v25, v62, v22
	v_mul_u32_u24_e32 v20, 0x78, v20
	v_sub_f32_e32 v22, v22, v33
	s_delay_alu instid0(VALU_DEP_4) | instskip(SKIP_1) | instid1(VALU_DEP_4)
	v_fmamk_f32 v53, v42, 0x3f737871, v41
	v_fmac_f32_e32 v41, 0xbf737871, v42
	v_add3_u32 v24, 0, v20, v34
	v_add_f32_e32 v34, v131, v30
	v_fma_f32 v25, -0.5, v25, v18
	v_fmac_f32_e32 v53, 0x3f167918, v54
	v_dual_fmac_f32 v41, 0xbf167918, v54 :: v_dual_fmac_f32 v18, -0.5, v63
	v_add_f32_e32 v63, v78, v146
	s_delay_alu instid0(VALU_DEP_3) | instskip(NEXT) | instid1(VALU_DEP_3)
	v_dual_fmac_f32 v53, 0x3e9e377a, v38 :: v_dual_fmac_f32 v4, v145, v40
	v_dual_add_f32 v40, v122, v131 :: v_dual_fmac_f32 v41, 0x3e9e377a, v38
	v_fmac_f32_e32 v122, -0.5, v34
	v_dual_sub_f32 v34, v66, v131 :: v_dual_fmamk_f32 v33, v52, 0xbf737871, v18
	v_fmac_f32_e32 v18, 0x3f737871, v52
	s_delay_alu instid0(VALU_DEP_3) | instskip(NEXT) | instid1(VALU_DEP_3)
	v_dual_add_f32 v20, v40, v66 :: v_dual_fmamk_f32 v61, v54, 0xbf737871, v122
	v_add_f32_e32 v60, v34, v60
	v_sub_f32_e32 v34, v62, v129
	v_add_f32_e32 v62, v146, v31
	v_fmac_f32_e32 v122, 0x3f737871, v54
	v_sub_f32_e32 v54, v77, v36
	v_fmamk_f32 v40, v45, 0x3f737871, v25
	v_add_f32_e32 v22, v34, v22
	v_fmac_f32_e32 v78, -0.5, v62
	v_dual_sub_f32 v62, v64, v146 :: v_dual_fmac_f32 v33, 0x3f167918, v45
	v_fmac_f32_e32 v18, 0xbf167918, v45
	v_fmac_f32_e32 v25, 0xbf737871, v45
	s_delay_alu instid0(VALU_DEP_4) | instskip(NEXT) | instid1(VALU_DEP_4)
	v_fmamk_f32 v34, v47, 0x3f737871, v78
	v_dual_add_f32 v62, v62, v69 :: v_dual_fmac_f32 v61, 0x3f167918, v42
	v_fmac_f32_e32 v33, 0x3e9e377a, v22
	v_fmac_f32_e32 v18, 0x3e9e377a, v22
	s_delay_alu instid0(VALU_DEP_4) | instskip(NEXT) | instid1(VALU_DEP_4)
	v_dual_fmac_f32 v34, 0xbf167918, v43 :: v_dual_fmac_f32 v25, 0xbf167918, v52
	v_fmac_f32_e32 v61, 0x3e9e377a, v60
	v_dual_fmac_f32 v78, 0xbf737871, v47 :: v_dual_sub_f32 v69, v13, v17
	s_delay_alu instid0(VALU_DEP_3) | instskip(SKIP_1) | instid1(VALU_DEP_3)
	v_dual_fmac_f32 v34, 0x3e9e377a, v62 :: v_dual_fmac_f32 v25, 0x3e9e377a, v39
	v_add_f32_e32 v20, v20, v29
	v_dual_fmac_f32 v78, 0x3f167918, v43 :: v_dual_sub_f32 v29, v66, v29
	s_delay_alu instid0(VALU_DEP_3) | instskip(NEXT) | instid1(VALU_DEP_2)
	v_mul_f32_e32 v22, 0x3f737871, v34
	v_fmac_f32_e32 v78, 0x3e9e377a, v62
	v_add_f32_e32 v62, v127, v17
	s_delay_alu instid0(VALU_DEP_3) | instskip(NEXT) | instid1(VALU_DEP_1)
	v_fmac_f32_e32 v22, 0x3e9e377a, v33
	v_add_f32_e32 v43, v61, v22
	v_fmac_f32_e32 v122, 0xbf167918, v42
	v_mul_f32_e32 v42, 0x3f4f1bbd, v25
	s_delay_alu instid0(VALU_DEP_2) | instskip(NEXT) | instid1(VALU_DEP_2)
	v_fmac_f32_e32 v122, 0x3e9e377a, v60
	v_fma_f32 v38, 0x3f167918, v26, -v42
	v_sub_f32_e32 v60, v11, v10
	s_delay_alu instid0(VALU_DEP_2) | instskip(SKIP_2) | instid1(VALU_DEP_1)
	v_add_f32_e32 v47, v41, v38
	v_sub_f32_e32 v38, v41, v38
	v_dual_sub_f32 v41, v77, v58 :: v_dual_fmac_f32 v40, 0x3f167918, v52
	v_dual_fmac_f32 v40, 0x3e9e377a, v39 :: v_dual_mul_f32 v39, 0x3e9e377a, v18
	s_delay_alu instid0(VALU_DEP_1) | instskip(NEXT) | instid1(VALU_DEP_2)
	v_fmac_f32_e32 v55, 0x3f4f1bbd, v40
	v_fma_f32 v39, 0x3f737871, v78, -v39
	s_delay_alu instid0(VALU_DEP_2) | instskip(SKIP_2) | instid1(VALU_DEP_4)
	v_add_f32_e32 v42, v53, v55
	v_dual_sub_f32 v52, v53, v55 :: v_dual_add_f32 v53, v58, v32
	v_add_f32_e32 v56, v20, v30
	v_dual_add_f32 v44, v122, v39 :: v_dual_sub_f32 v55, v125, v16
	v_sub_f32_e32 v22, v61, v22
	ds_load_b32 v27, v97
	ds_load_b32 v20, v101
	v_add_f32_e32 v68, v56, v57
	v_sub_f32_e32 v45, v56, v57
	global_wb scope:SCOPE_SE
	s_wait_dscnt 0x0
	s_barrier_signal -1
	s_barrier_wait -1
	global_inv scope:SCOPE_SE
	ds_store_2addr_b32 v24, v68, v42 offset1:3
	ds_store_2addr_b32 v24, v43, v44 offset0:6 offset1:9
	ds_store_2addr_b32 v24, v47, v45 offset0:12 offset1:15
	;; [unrolled: 1-line block ×3, first 2 shown]
	v_sub_f32_e32 v22, v127, v12
	v_dual_sub_f32 v42, v17, v13 :: v_dual_and_b32 v43, 0xffff, v132
	v_sub_f32_e32 v45, v15, v14
	v_lshlrev_b32_e32 v47, 2, v133
	v_add_f32_e32 v52, v12, v13
	s_delay_alu instid0(VALU_DEP_4)
	v_add_f32_e32 v42, v22, v42
	v_sub_f32_e32 v22, v67, v9
	v_mul_u32_u24_e32 v43, 0x78, v43
	v_sub_f32_e32 v44, v36, v32
	v_sub_f32_e32 v56, v58, v32
	v_fma_f32 v132, -0.5, v53, v123
	v_add_f32_e32 v45, v22, v45
	v_add3_u32 v22, 0, v43, v47
	v_fma_f32 v47, -0.5, v52, v121
	v_dual_add_f32 v52, v123, v77 :: v_dual_add_f32 v43, v9, v14
	v_sub_f32_e32 v61, v9, v14
	v_fmac_f32_e32 v123, -0.5, v71
	s_delay_alu instid0(VALU_DEP_3) | instskip(NEXT) | instid1(VALU_DEP_4)
	v_dual_sub_f32 v53, v67, v15 :: v_dual_add_f32 v52, v52, v58
	v_fma_f32 v43, -0.5, v43, v124
	s_delay_alu instid0(VALU_DEP_3) | instskip(NEXT) | instid1(VALU_DEP_3)
	v_dual_sub_f32 v58, v58, v77 :: v_dual_fmamk_f32 v77, v61, 0xbf737871, v123
	v_dual_fmac_f32 v123, 0x3f737871, v61 :: v_dual_add_f32 v52, v52, v32
	s_delay_alu instid0(VALU_DEP_3) | instskip(SKIP_2) | instid1(VALU_DEP_4)
	v_dual_sub_f32 v32, v32, v36 :: v_dual_fmamk_f32 v133, v54, 0xbf737871, v43
	v_fmamk_f32 v134, v53, 0x3f737871, v132
	v_fmac_f32_e32 v132, 0xbf737871, v53
	v_add_f32_e32 v52, v52, v36
	v_add_f32_e32 v36, v67, v15
	;; [unrolled: 1-line block ×3, first 2 shown]
	v_dual_sub_f32 v58, v14, v15 :: v_dual_add_f32 v41, v41, v44
	v_add_f32_e32 v44, v121, v127
	s_delay_alu instid0(VALU_DEP_4) | instskip(SKIP_2) | instid1(VALU_DEP_3)
	v_fmac_f32_e32 v124, -0.5, v36
	v_dual_sub_f32 v36, v9, v67 :: v_dual_fmamk_f32 v57, v55, 0x3f737871, v47
	v_fmac_f32_e32 v133, 0xbf167918, v56
	v_dual_fmac_f32 v121, -0.5, v62 :: v_dual_fmamk_f32 v136, v56, 0x3f737871, v124
	v_fmac_f32_e32 v47, 0xbf737871, v55
	v_fmac_f32_e32 v123, 0xbf167918, v53
	;; [unrolled: 1-line block ×3, first 2 shown]
	v_add_f32_e32 v36, v36, v58
	v_fmac_f32_e32 v136, 0xbf167918, v54
	v_fmac_f32_e32 v43, 0x3f737871, v54
	;; [unrolled: 1-line block ×3, first 2 shown]
	v_add_f32_e32 v44, v44, v12
	v_dual_fmac_f32 v57, 0x3f167918, v60 :: v_dual_fmac_f32 v134, 0x3f167918, v61
	v_fmac_f32_e32 v133, 0x3e9e377a, v45
	v_fmamk_f32 v70, v60, 0xbf737871, v121
	v_fmac_f32_e32 v121, 0x3f737871, v60
	v_fmac_f32_e32 v47, 0xbf167918, v60
	v_sub_f32_e32 v60, v0, v4
	v_dual_sub_f32 v62, v12, v127 :: v_dual_fmac_f32 v77, 0x3f167918, v53
	v_fmac_f32_e32 v124, 0x3f167918, v54
	v_fmac_f32_e32 v123, 0x3e9e377a, v32
	;; [unrolled: 1-line block ×6, first 2 shown]
	v_add_f32_e32 v62, v62, v69
	v_sub_f32_e32 v56, v59, v35
	v_mul_f32_e32 v68, 0x3f167918, v133
	v_add_f32_e32 v69, v65, v37
	v_add_f32_e32 v44, v44, v13
	v_fmac_f32_e32 v70, 0x3f167918, v55
	v_fmac_f32_e32 v121, 0xbf167918, v55
	;; [unrolled: 1-line block ×4, first 2 shown]
	v_mul_f32_e32 v32, 0x3f737871, v136
	v_dual_mul_f32 v36, 0x3e9e377a, v123 :: v_dual_fmac_f32 v43, 0x3e9e377a, v45
	v_dual_mul_f32 v41, 0x3f4f1bbd, v132 :: v_dual_add_f32 v44, v44, v17
	v_dual_fmac_f32 v68, 0x3f4f1bbd, v134 :: v_dual_add_f32 v61, v81, v8
	v_fmac_f32_e32 v57, 0x3e9e377a, v42
	v_fmac_f32_e32 v70, 0x3e9e377a, v62
	v_dual_fmac_f32 v121, 0x3e9e377a, v62 :: v_dual_fmac_f32 v32, 0x3e9e377a, v77
	v_fma_f32 v36, 0x3f737871, v124, -v36
	v_fmac_f32_e32 v47, 0x3e9e377a, v42
	v_fma_f32 v41, 0x3f167918, v43, -v41
	v_dual_sub_f32 v39, v122, v39 :: v_dual_mul_f32 v40, 0xbf167918, v40
	v_dual_add_f32 v42, v57, v68 :: v_dual_sub_f32 v55, v19, v7
	v_add_f32_e32 v72, v44, v52
	v_add_f32_e32 v45, v70, v32
	;; [unrolled: 1-line block ×3, first 2 shown]
	v_sub_f32_e32 v44, v44, v52
	v_sub_f32_e32 v30, v131, v30
	v_add_f32_e32 v52, v47, v41
	v_sub_f32_e32 v54, v57, v68
	v_sub_f32_e32 v32, v70, v32
	ds_store_2addr_b32 v24, v39, v38 offset0:24 offset1:27
	ds_store_2addr_b32 v22, v72, v42 offset1:3
	ds_store_2addr_b32 v22, v45, v53 offset0:6 offset1:9
	ds_store_2addr_b32 v22, v52, v44 offset0:12 offset1:15
	;; [unrolled: 1-line block ×3, first 2 shown]
	v_sub_f32_e32 v39, v47, v41
	v_sub_f32_e32 v38, v8, v5
	v_fmac_f32_e32 v40, 0x3f4f1bbd, v46
	v_sub_f32_e32 v32, v81, v3
	v_sub_f32_e32 v44, v6, v4
	v_mul_u32_u24_e32 v45, 0x78, v126
	v_dual_add_f32 v52, v3, v5 :: v_dual_lshlrev_b32 v47, 2, v128
	s_delay_alu instid0(VALU_DEP_4) | instskip(SKIP_3) | instid1(VALU_DEP_3)
	v_dual_add_f32 v38, v32, v38 :: v_dual_sub_f32 v17, v127, v17
	v_dual_sub_f32 v32, v76, v0 :: v_dual_sub_f32 v41, v65, v59
	v_sub_f32_e32 v42, v37, v35
	v_dual_sub_f32 v12, v12, v13 :: v_dual_add_f32 v53, v59, v35
	v_add_f32_e32 v44, v32, v44
	v_add3_u32 v32, 0, v45, v47
	v_fma_f32 v47, -0.5, v52, v120
	v_dual_add_f32 v52, v80, v65 :: v_dual_add_f32 v41, v41, v42
	v_add_f32_e32 v42, v120, v81
	v_dual_add_f32 v45, v0, v4 :: v_dual_sub_f32 v54, v65, v37
	s_delay_alu instid0(VALU_DEP_3) | instskip(SKIP_1) | instid1(VALU_DEP_4)
	v_add_f32_e32 v52, v52, v59
	v_fma_f32 v137, -0.5, v53, v80
	v_add_f32_e32 v42, v42, v3
	s_delay_alu instid0(VALU_DEP_4) | instskip(SKIP_2) | instid1(VALU_DEP_4)
	v_fma_f32 v45, -0.5, v45, v82
	v_sub_f32_e32 v58, v1, v2
	v_dual_add_f32 v52, v52, v35 :: v_dual_sub_f32 v35, v35, v37
	v_add_f32_e32 v42, v42, v5
	v_fmac_f32_e32 v120, -0.5, v61
	v_fmac_f32_e32 v80, -0.5, v69
	s_delay_alu instid0(VALU_DEP_4) | instskip(SKIP_4) | instid1(VALU_DEP_4)
	v_add_f32_e32 v52, v52, v37
	v_add_f32_e32 v37, v76, v6
	v_sub_f32_e32 v59, v59, v65
	v_dual_sub_f32 v53, v76, v6 :: v_dual_fmamk_f32 v138, v54, 0xbf737871, v45
	v_add_f32_e32 v42, v42, v8
	v_dual_fmac_f32 v82, -0.5, v37 :: v_dual_sub_f32 v67, v5, v8
	v_fmamk_f32 v68, v58, 0xbf737871, v120
	v_fmac_f32_e32 v120, 0x3f737871, v58
	v_fmamk_f32 v141, v60, 0xbf737871, v80
	v_dual_add_f32 v35, v59, v35 :: v_dual_fmac_f32 v80, 0x3f737871, v60
	v_sub_f32_e32 v37, v0, v76
	v_dual_sub_f32 v59, v4, v6 :: v_dual_sub_f32 v8, v81, v8
	v_fmamk_f32 v76, v56, 0x3f737871, v82
	v_dual_fmamk_f32 v140, v53, 0x3f737871, v137 :: v_dual_add_f32 v9, v135, v9
	v_fmac_f32_e32 v137, 0xbf737871, v53
	v_dual_fmac_f32 v138, 0xbf167918, v56 :: v_dual_sub_f32 v61, v3, v81
	v_dual_fmac_f32 v120, 0xbf167918, v55 :: v_dual_sub_f32 v3, v3, v5
	v_fmac_f32_e32 v80, 0xbf167918, v53
	v_dual_fmac_f32 v82, 0xbf737871, v56 :: v_dual_add_f32 v37, v37, v59
	v_fmac_f32_e32 v76, 0xbf167918, v54
	v_fmac_f32_e32 v45, 0x3f737871, v54
	;; [unrolled: 1-line block ×3, first 2 shown]
	v_fmamk_f32 v57, v55, 0x3f737871, v47
	v_dual_add_f32 v9, v9, v14 :: v_dual_fmac_f32 v140, 0x3f167918, v60
	v_fmac_f32_e32 v138, 0x3e9e377a, v44
	v_dual_fmac_f32 v141, 0x3f167918, v53 :: v_dual_fmac_f32 v82, 0x3f167918, v54
	v_fmac_f32_e32 v80, 0x3e9e377a, v35
	v_fmac_f32_e32 v76, 0x3e9e377a, v37
	;; [unrolled: 1-line block ×6, first 2 shown]
	v_dual_add_f32 v9, v9, v15 :: v_dual_fmac_f32 v140, 0x3e9e377a, v41
	v_dual_mul_f32 v62, 0x3f167918, v138 :: v_dual_add_f32 v61, v61, v67
	v_fmac_f32_e32 v68, 0x3f167918, v55
	v_dual_fmac_f32 v141, 0x3e9e377a, v35 :: v_dual_fmac_f32 v82, 0x3e9e377a, v37
	v_mul_f32_e32 v35, 0x3f737871, v76
	v_mul_f32_e32 v37, 0x3e9e377a, v80
	v_fmac_f32_e32 v47, 0xbf167918, v58
	v_fmac_f32_e32 v45, 0x3e9e377a, v44
	v_mul_f32_e32 v41, 0x3f4f1bbd, v137
	v_fmac_f32_e32 v57, 0x3e9e377a, v38
	v_fmac_f32_e32 v62, 0x3f4f1bbd, v140
	;; [unrolled: 1-line block ×5, first 2 shown]
	v_fma_f32 v37, 0x3f737871, v82, -v37
	v_fmac_f32_e32 v47, 0x3e9e377a, v38
	v_fma_f32 v38, 0x3f167918, v45, -v41
	v_sub_f32_e32 v36, v121, v36
	v_dual_add_f32 v70, v42, v52 :: v_dual_add_f32 v41, v57, v62
	v_add_f32_e32 v44, v68, v35
	v_dual_add_f32 v53, v120, v37 :: v_dual_sub_f32 v42, v42, v52
	v_add_f32_e32 v52, v47, v38
	v_dual_sub_f32 v54, v57, v62 :: v_dual_sub_f32 v35, v68, v35
	ds_store_2addr_b32 v22, v36, v39 offset0:24 offset1:27
	ds_store_2addr_b32 v32, v70, v41 offset1:3
	ds_store_2addr_b32 v32, v44, v53 offset0:6 offset1:9
	ds_store_2addr_b32 v32, v52, v42 offset0:12 offset1:15
	;; [unrolled: 1-line block ×3, first 2 shown]
	v_sub_f32_e32 v35, v120, v37
	v_sub_f32_e32 v37, v47, v38
	v_dual_add_f32 v39, v27, v139 :: v_dual_add_f32 v36, v130, v21
	v_add_f32_e32 v38, v63, v64
	v_sub_f32_e32 v41, v139, v130
	ds_store_2addr_b32 v32, v35, v37 offset0:24 offset1:27
	v_add_f32_e32 v39, v39, v130
	v_add_f32_e32 v35, v139, v23
	v_fma_f32 v36, -0.5, v36, v27
	v_add_f32_e32 v28, v38, v28
	v_sub_f32_e32 v42, v23, v21
	v_add_f32_e32 v39, v39, v21
	s_delay_alu instid0(VALU_DEP_4) | instskip(NEXT) | instid1(VALU_DEP_4)
	v_dual_fmac_f32 v27, -0.5, v35 :: v_dual_fmamk_f32 v44, v30, 0xbf737871, v36
	v_add_f32_e32 v28, v28, v31
	v_sub_f32_e32 v35, v130, v139
	s_delay_alu instid0(VALU_DEP_4)
	v_add_f32_e32 v31, v39, v23
	v_sub_f32_e32 v21, v21, v23
	v_fmamk_f32 v23, v29, 0x3f737871, v27
	v_fmac_f32_e32 v27, 0xbf737871, v29
	v_fmac_f32_e32 v36, 0x3f737871, v30
	v_add_f32_e32 v38, v41, v42
	v_fmac_f32_e32 v44, 0xbf167918, v29
	v_add_f32_e32 v21, v35, v21
	v_fmac_f32_e32 v23, 0xbf167918, v30
	v_fmac_f32_e32 v27, 0x3f167918, v30
	v_mul_f32_e32 v30, 0xbf737871, v33
	v_mul_f32_e32 v33, 0x3e9e377a, v78
	v_fmac_f32_e32 v36, 0x3f167918, v29
	v_mul_f32_e32 v26, 0x3f4f1bbd, v26
	global_wb scope:SCOPE_SE
	s_wait_dscnt 0x0
	s_barrier_signal -1
	s_barrier_wait -1
	global_inv scope:SCOPE_SE
	ds_load_b32 v126, v116
	ds_load_b32 v122, v97
	;; [unrolled: 1-line block ×6, first 2 shown]
	ds_load_2addr_b32 v[70:71], v100 offset0:56 offset1:146
	ds_load_2addr_b32 v[64:65], v103 offset0:108 offset1:198
	;; [unrolled: 1-line block ×8, first 2 shown]
	v_dual_fmac_f32 v44, 0x3e9e377a, v38 :: v_dual_fmac_f32 v23, 0x3e9e377a, v21
	v_dual_fmac_f32 v27, 0x3e9e377a, v21 :: v_dual_fmac_f32 v30, 0x3e9e377a, v34
	v_fma_f32 v18, 0xbf737871, v18, -v33
	v_fmac_f32_e32 v36, 0x3e9e377a, v38
	v_fma_f32 v21, 0xbf167918, v25, -v26
	v_add_f32_e32 v35, v31, v28
	v_add_f32_e32 v37, v44, v40
	;; [unrolled: 1-line block ×4, first 2 shown]
	v_dual_sub_f32 v28, v31, v28 :: v_dual_add_f32 v29, v36, v21
	ds_load_2addr_b32 v[74:75], v108 offset0:132 offset1:222
	ds_load_2addr_b32 v[66:67], v111 offset0:160 offset1:250
	;; [unrolled: 1-line block ×4, first 2 shown]
	global_wb scope:SCOPE_SE
	s_wait_dscnt 0x0
	s_barrier_signal -1
	s_barrier_wait -1
	global_inv scope:SCOPE_SE
	ds_store_2addr_b32 v24, v35, v37 offset1:3
	v_sub_f32_e32 v31, v44, v40
	v_sub_f32_e32 v23, v23, v30
	ds_store_2addr_b32 v24, v25, v26 offset0:6 offset1:9
	ds_store_2addr_b32 v24, v29, v28 offset0:12 offset1:15
	v_dual_add_f32 v25, v20, v125 :: v_dual_sub_f32 v18, v27, v18
	v_sub_f32_e32 v21, v36, v21
	ds_store_2addr_b32 v24, v31, v23 offset0:18 offset1:21
	ds_store_2addr_b32 v24, v18, v21 offset0:24 offset1:27
	v_dual_add_f32 v21, v25, v11 :: v_dual_add_f32 v24, v11, v10
	v_add_f32_e32 v25, v125, v16
	v_dual_sub_f32 v18, v125, v11 :: v_dual_sub_f32 v23, v16, v10
	s_delay_alu instid0(VALU_DEP_3) | instskip(NEXT) | instid1(VALU_DEP_4)
	v_add_f32_e32 v13, v21, v10
	v_fma_f32 v21, -0.5, v24, v20
	s_delay_alu instid0(VALU_DEP_4) | instskip(NEXT) | instid1(VALU_DEP_4)
	v_fmac_f32_e32 v20, -0.5, v25
	v_dual_sub_f32 v11, v11, v125 :: v_dual_add_f32 v18, v18, v23
	v_sub_f32_e32 v10, v10, v16
	v_add_f32_e32 v13, v13, v16
	s_delay_alu instid0(VALU_DEP_4) | instskip(SKIP_3) | instid1(VALU_DEP_4)
	v_fmamk_f32 v23, v12, 0x3f737871, v20
	v_fmac_f32_e32 v20, 0xbf737871, v12
	v_fmamk_f32 v16, v17, 0xbf737871, v21
	v_dual_fmac_f32 v21, 0x3f737871, v17 :: v_dual_add_f32 v10, v11, v10
	v_fmac_f32_e32 v23, 0xbf167918, v17
	s_delay_alu instid0(VALU_DEP_4) | instskip(NEXT) | instid1(VALU_DEP_4)
	v_fmac_f32_e32 v20, 0x3f167918, v17
	v_fmac_f32_e32 v16, 0xbf167918, v12
	s_delay_alu instid0(VALU_DEP_4)
	v_fmac_f32_e32 v21, 0x3f167918, v12
	v_mul_f32_e32 v11, 0xbf737871, v77
	v_fmac_f32_e32 v23, 0x3e9e377a, v10
	v_fmac_f32_e32 v20, 0x3e9e377a, v10
	v_mul_f32_e32 v10, 0xbf167918, v134
	v_mul_f32_e32 v12, 0x3e9e377a, v124
	;; [unrolled: 1-line block ×3, first 2 shown]
	v_fmac_f32_e32 v16, 0x3e9e377a, v18
	v_fmac_f32_e32 v21, 0x3e9e377a, v18
	;; [unrolled: 1-line block ×4, first 2 shown]
	v_fma_f32 v12, 0xbf737871, v123, -v12
	v_fma_f32 v14, 0xbf167918, v132, -v14
	v_dual_add_f32 v18, v83, v19 :: v_dual_add_f32 v15, v13, v9
	v_sub_f32_e32 v9, v13, v9
	v_add_f32_e32 v13, v16, v10
	v_sub_f32_e32 v10, v16, v10
	v_add_f32_e32 v16, v23, v11
	;; [unrolled: 2-line block ×4, first 2 shown]
	v_dual_sub_f32 v14, v21, v14 :: v_dual_sub_f32 v21, v19, v1
	v_dual_add_f32 v18, v18, v1 :: v_dual_sub_f32 v23, v7, v2
	v_add_f32_e32 v24, v1, v2
	v_dual_sub_f32 v1, v1, v19 :: v_dual_add_f32 v0, v142, v0
	s_delay_alu instid0(VALU_DEP_3) | instskip(NEXT) | instid1(VALU_DEP_3)
	v_dual_add_f32 v5, v18, v2 :: v_dual_add_f32 v18, v21, v23
	v_fma_f32 v21, -0.5, v24, v83
	v_add_f32_e32 v25, v19, v7
	v_sub_f32_e32 v2, v2, v7
	s_delay_alu instid0(VALU_DEP_4) | instskip(NEXT) | instid1(VALU_DEP_4)
	v_dual_add_f32 v5, v5, v7 :: v_dual_add_f32 v0, v0, v4
	v_fmamk_f32 v7, v8, 0xbf737871, v21
	v_fmac_f32_e32 v21, 0x3f737871, v8
	s_delay_alu instid0(VALU_DEP_4) | instskip(NEXT) | instid1(VALU_DEP_3)
	v_dual_add_f32 v1, v1, v2 :: v_dual_mul_f32 v2, 0xbf167918, v140
	v_dual_add_f32 v0, v0, v6 :: v_dual_fmac_f32 v7, 0xbf167918, v3
	v_mul_lo_u16 v6, 0x89, v85
	v_fmac_f32_e32 v83, -0.5, v25
	v_fmac_f32_e32 v21, 0x3f167918, v3
	v_fmac_f32_e32 v2, 0x3f4f1bbd, v138
	;; [unrolled: 1-line block ×3, first 2 shown]
	v_lshrrev_b16 v127, 12, v6
	v_fmamk_f32 v19, v3, 0x3f737871, v83
	v_fmac_f32_e32 v83, 0xbf737871, v3
	v_fmac_f32_e32 v21, 0x3e9e377a, v18
	v_add_f32_e32 v18, v7, v2
	v_sub_f32_e32 v2, v7, v2
	v_mul_lo_u16 v7, v127, 30
	v_fmac_f32_e32 v19, 0xbf167918, v8
	v_fmac_f32_e32 v83, 0x3f167918, v8
	v_mul_f32_e32 v3, 0xbf737871, v141
	v_mul_f32_e32 v4, 0x3f4f1bbd, v45
	v_sub_nc_u16 v7, v86, v7
	v_fmac_f32_e32 v19, 0x3e9e377a, v1
	v_fmac_f32_e32 v83, 0x3e9e377a, v1
	v_mul_f32_e32 v1, 0x3e9e377a, v82
	v_fmac_f32_e32 v3, 0x3e9e377a, v76
	v_and_b32_e32 v130, 0xff, v7
	v_mul_lo_u16 v7, 0x89, v84
	v_fma_f32 v4, 0xbf167918, v137, -v4
	v_fma_f32 v1, 0xbf737871, v80, -v1
	v_add_f32_e32 v8, v5, v0
	v_add_f32_e32 v6, v19, v3
	v_sub_f32_e32 v3, v19, v3
	v_lshrrev_b16 v125, 12, v7
	v_dual_sub_f32 v0, v5, v0 :: v_dual_add_f32 v5, v83, v1
	v_add_f32_e32 v19, v21, v4
	v_dual_sub_f32 v1, v83, v1 :: v_dual_sub_f32 v4, v21, v4
	ds_store_2addr_b32 v22, v15, v13 offset1:3
	ds_store_2addr_b32 v22, v16, v17 offset0:6 offset1:9
	ds_store_2addr_b32 v22, v20, v9 offset0:12 offset1:15
	;; [unrolled: 1-line block ×4, first 2 shown]
	ds_store_2addr_b32 v32, v8, v18 offset1:3
	ds_store_2addr_b32 v32, v6, v5 offset0:6 offset1:9
	ds_store_2addr_b32 v32, v19, v0 offset0:12 offset1:15
	v_mul_u32_u24_e32 v0, 9, v130
	ds_store_2addr_b32 v32, v2, v3 offset0:18 offset1:21
	ds_store_2addr_b32 v32, v1, v4 offset0:24 offset1:27
	v_mul_u32_u24_e32 v1, 0x8889, v79
	v_mul_lo_u16 v2, v125, 30
	global_wb scope:SCOPE_SE
	s_wait_dscnt 0x0
	v_lshlrev_b32_e32 v76, 3, v0
	s_barrier_signal -1
	v_lshrrev_b32_e32 v123, 20, v1
	v_sub_nc_u16 v0, v113, v2
	s_barrier_wait -1
	global_inv scope:SCOPE_SE
	s_clause 0x1
	global_load_b128 v[20:23], v76, s[8:9] offset:216
	global_load_b128 v[16:19], v76, s[8:9] offset:232
	v_mul_lo_u16 v1, v123, 30
	v_and_b32_e32 v131, 0xff, v0
	s_delay_alu instid0(VALU_DEP_2) | instskip(NEXT) | instid1(VALU_DEP_2)
	v_sub_nc_u16 v0, v114, v1
	v_mul_u32_u24_e32 v1, 9, v131
	s_delay_alu instid0(VALU_DEP_2) | instskip(NEXT) | instid1(VALU_DEP_2)
	v_and_b32_e32 v124, 0xffff, v0
	v_lshlrev_b32_e32 v77, 3, v1
	s_delay_alu instid0(VALU_DEP_2)
	v_mul_u32_u24_e32 v0, 9, v124
	global_load_b128 v[12:15], v77, s[8:9] offset:216
	v_lshlrev_b32_e32 v80, 3, v0
	s_clause 0xb
	global_load_b128 v[0:3], v77, s[8:9] offset:232
	global_load_b128 v[4:7], v80, s[8:9] offset:216
	;; [unrolled: 1-line block ×9, first 2 shown]
	global_load_b64 v[78:79], v76, s[8:9] offset:280
	global_load_b64 v[76:77], v77, s[8:9] offset:280
	;; [unrolled: 1-line block ×3, first 2 shown]
	ds_load_b32 v136, v115
	ds_load_b32 v135, v117
	;; [unrolled: 1-line block ×3, first 2 shown]
	ds_load_2addr_b32 v[84:85], v100 offset0:56 offset1:146
	ds_load_2addr_b32 v[82:83], v119 offset0:104 offset1:194
	ds_load_b32 v119, v109
	ds_load_2addr_b32 v[137:138], v118 offset0:118 offset1:208
	s_wait_loadcnt_dscnt 0xe06
	v_mul_f32_e32 v139, v136, v21
	s_wait_dscnt 0x5
	v_dual_mul_f32 v132, v129, v21 :: v_dual_mul_f32 v21, v135, v23
	v_mul_f32_e32 v133, v128, v23
	s_delay_alu instid0(VALU_DEP_3) | instskip(NEXT) | instid1(VALU_DEP_3)
	v_fma_f32 v129, v129, v20, -v139
	v_fmac_f32_e32 v132, v136, v20
	s_delay_alu instid0(VALU_DEP_4)
	v_fma_f32 v20, v128, v22, -v21
	s_wait_loadcnt_dscnt 0xd04
	v_mul_f32_e32 v21, v134, v17
	s_wait_dscnt 0x3
	v_dual_mul_f32 v136, v126, v17 :: v_dual_mul_f32 v17, v84, v19
	v_dual_fmac_f32 v133, v135, v22 :: v_dual_mul_f32 v128, v70, v19
	s_delay_alu instid0(VALU_DEP_3)
	v_fma_f32 v19, v126, v16, -v21
	ds_load_2addr_b32 v[21:22], v108 offset0:132 offset1:222
	v_fmac_f32_e32 v136, v134, v16
	v_fma_f32 v16, v70, v18, -v17
	s_wait_loadcnt_dscnt 0xc03
	v_dual_fmac_f32 v128, v84, v18 :: v_dual_mul_f32 v17, v82, v13
	s_wait_dscnt 0x1
	v_dual_mul_f32 v118, v72, v13 :: v_dual_mul_f32 v13, v137, v15
	v_mul_f32_e32 v84, v68, v15
	s_delay_alu instid0(VALU_DEP_3)
	v_fma_f32 v70, v72, v12, -v17
	ds_load_2addr_b32 v[17:18], v103 offset0:108 offset1:198
	v_fmac_f32_e32 v118, v82, v12
	s_wait_loadcnt 0xb
	v_mul_f32_e32 v12, v85, v3
	v_mul_f32_e32 v72, v71, v3
	s_wait_loadcnt 0xa
	v_mul_f32_e32 v3, v83, v5
	v_fma_f32 v82, v68, v14, -v13
	v_fmac_f32_e32 v84, v137, v14
	v_fma_f32 v68, v71, v2, -v12
	v_fmac_f32_e32 v72, v85, v2
	v_fma_f32 v2, v73, v4, -v3
	v_dual_mul_f32 v3, v73, v5 :: v_dual_mul_f32 v12, v138, v7
	v_mul_f32_e32 v5, v69, v7
	s_wait_dscnt 0x1
	v_mul_f32_e32 v7, v21, v1
	ds_load_2addr_b32 v[14:15], v104 offset0:84 offset1:174
	v_mul_f32_e32 v71, v74, v1
	s_wait_loadcnt 0x9
	v_mul_f32_e32 v1, v22, v9
	v_mul_f32_e32 v13, v75, v9
	v_fmac_f32_e32 v3, v83, v4
	v_fma_f32 v83, v74, v0, -v7
	ds_load_2addr_b32 v[73:74], v111 offset0:160 offset1:250
	v_fmac_f32_e32 v71, v21, v0
	v_fma_f32 v75, v75, v8, -v1
	v_dual_fmac_f32 v13, v22, v8 :: v_dual_mul_f32 v0, v64, v11
	s_wait_loadcnt 0x8
	v_mul_f32_e32 v8, v65, v25
	v_fma_f32 v4, v69, v6, -v12
	s_wait_dscnt 0x2
	v_dual_fmac_f32 v5, v138, v6 :: v_dual_mul_f32 v6, v17, v11
	v_mul_f32_e32 v7, v18, v25
	ds_load_2addr_b32 v[11:12], v105 offset0:8 offset1:98
	v_fmac_f32_e32 v8, v18, v24
	v_fmac_f32_e32 v0, v17, v10
	ds_load_2addr_b32 v[17:18], v106 offset0:112 offset1:202
	v_fma_f32 v25, v65, v24, -v7
	s_wait_loadcnt_dscnt 0x703
	v_mul_f32_e32 v7, v15, v31
	v_fma_f32 v1, v64, v10, -v6
	v_mul_f32_e32 v6, v14, v27
	v_mul_f32_e32 v65, v62, v27
	;; [unrolled: 1-line block ×3, first 2 shown]
	v_fma_f32 v63, v63, v30, -v7
	s_wait_loadcnt_dscnt 0x602
	v_mul_f32_e32 v7, v74, v33
	v_fma_f32 v9, v62, v26, -v6
	v_dual_fmac_f32 v65, v14, v26 :: v_dual_mul_f32 v6, v73, v29
	v_fmac_f32_e32 v64, v15, v30
	v_mul_f32_e32 v62, v66, v29
	ds_load_2addr_b32 v[14:15], v110 offset0:60 offset1:150
	v_fma_f32 v27, v67, v32, -v7
	v_mul_f32_e32 v7, v58, v35
	s_wait_loadcnt_dscnt 0x502
	v_mul_f32_e32 v23, v12, v37
	ds_load_2addr_b32 v[21:22], v107 offset0:36 offset1:126
	v_fma_f32 v26, v66, v28, -v6
	s_wait_dscnt 0x2
	v_mul_f32_e32 v24, v17, v39
	v_mul_f32_e32 v10, v11, v35
	v_dual_fmac_f32 v62, v73, v28 :: v_dual_fmac_f32 v7, v11, v34
	v_fma_f32 v28, v59, v36, -v23
	s_delay_alu instid0(VALU_DEP_4)
	v_fma_f32 v11, v56, v38, -v24
	ds_load_2addr_b32 v[23:24], v112 offset0:88 offset1:178
	v_fma_f32 v58, v58, v34, -v10
	v_mul_f32_e32 v10, v59, v37
	v_mul_f32_e32 v66, v56, v39
	s_wait_loadcnt 0x4
	v_dual_mul_f32 v59, v57, v43 :: v_dual_mul_f32 v56, v60, v41
	s_delay_alu instid0(VALU_DEP_3)
	v_dual_add_f32 v37, v129, v19 :: v_dual_fmac_f32 v10, v12, v36
	v_mul_f32_e32 v12, v18, v43
	s_wait_dscnt 0x2
	v_dual_fmac_f32 v66, v17, v38 :: v_dual_mul_f32 v17, v14, v41
	v_fmac_f32_e32 v59, v18, v42
	v_fmac_f32_e32 v56, v14, v40
	v_fma_f32 v57, v57, v42, -v12
	s_wait_loadcnt 0x3
	v_mul_f32_e32 v12, v15, v45
	v_mul_f32_e32 v42, v61, v45
	s_wait_dscnt 0x1
	v_mul_f32_e32 v14, v21, v47
	v_fma_f32 v17, v60, v40, -v17
	v_sub_f32_e32 v38, v8, v10
	v_fma_f32 v18, v61, v44, -v12
	v_fmac_f32_e32 v42, v15, v44
	v_fma_f32 v44, v52, v46, -v14
	s_wait_loadcnt_dscnt 0x100
	v_mul_f32_e32 v14, v23, v77
	v_mul_f32_e32 v6, v67, v33
	v_add_f32_e32 v37, v37, v25
	v_add_f32_e32 v33, v122, v20
	v_mul_f32_e32 v45, v52, v47
	v_fma_f32 v30, v54, v76, -v14
	v_and_b32_e32 v14, 0xffff, v127
	v_fmac_f32_e32 v6, v74, v32
	v_dual_add_f32 v37, v37, v28 :: v_dual_lshlrev_b32 v32, 2, v130
	v_mul_f32_e32 v29, v22, v79
	s_delay_alu instid0(VALU_DEP_4) | instskip(SKIP_2) | instid1(VALU_DEP_4)
	v_mul_u32_u24_e32 v14, 0x4b0, v14
	v_dual_fmac_f32 v45, v21, v46 :: v_dual_add_f32 v34, v16, v9
	v_add_f32_e32 v60, v20, v11
	v_fma_f32 v21, v53, v78, -v29
	s_delay_alu instid0(VALU_DEP_4) | instskip(SKIP_4) | instid1(VALU_DEP_4)
	v_add3_u32 v52, 0, v14, v32
	v_add_f32_e32 v32, v33, v16
	v_dual_mul_f32 v12, v53, v79 :: v_dual_sub_f32 v29, v11, v9
	v_add_f32_e32 v14, v25, v28
	v_add_f32_e32 v37, v37, v21
	;; [unrolled: 1-line block ×3, first 2 shown]
	s_delay_alu instid0(VALU_DEP_4) | instskip(SKIP_2) | instid1(VALU_DEP_4)
	v_fmac_f32_e32 v12, v22, v78
	v_dual_sub_f32 v22, v20, v16 :: v_dual_add_f32 v67, v19, v21
	v_mul_f32_e32 v46, v54, v77
	v_add_f32_e32 v32, v32, v11
	s_wait_loadcnt 0x0
	v_mul_f32_e32 v15, v24, v81
	v_mul_f32_e32 v43, v55, v81
	v_dual_add_f32 v22, v22, v29 :: v_dual_sub_f32 v31, v12, v10
	v_fma_f32 v33, -0.5, v34, v122
	v_fma_f32 v53, -0.5, v14, v129
	v_fmac_f32_e32 v122, -0.5, v60
	v_dual_sub_f32 v60, v16, v20 :: v_dual_sub_f32 v61, v9, v11
	v_add_f32_e32 v73, v32, v37
	v_sub_f32_e32 v29, v136, v8
	v_fmac_f32_e32 v129, -0.5, v67
	v_fmac_f32_e32 v43, v24, v80
	v_add_f32_e32 v60, v60, v61
	s_delay_alu instid0(VALU_DEP_4)
	v_dual_add_f32 v78, v82, v57 :: v_dual_add_f32 v29, v29, v31
	v_dual_sub_f32 v31, v19, v21 :: v_dual_sub_f32 v34, v136, v12
	v_dual_fmamk_f32 v61, v38, 0xbf737871, v129 :: v_dual_fmac_f32 v46, v23, v76
	v_fma_f32 v23, v55, v80, -v15
	v_dual_sub_f32 v15, v19, v25 :: v_dual_sub_f32 v24, v21, v28
	v_sub_f32_e32 v19, v25, v19
	v_sub_f32_e32 v21, v28, v21
	v_fmac_f32_e32 v61, 0x3f167918, v34
	v_sub_f32_e32 v35, v25, v28
	v_add_f32_e32 v24, v15, v24
	v_add_f32_e32 v25, v136, v12
	v_dual_add_f32 v19, v19, v21 :: v_dual_sub_f32 v36, v133, v66
	v_add_f32_e32 v21, v132, v136
	v_dual_sub_f32 v40, v128, v65 :: v_dual_fmac_f32 v129, 0x3f737871, v38
	s_delay_alu instid0(VALU_DEP_3)
	v_fmac_f32_e32 v61, 0x3e9e377a, v19
	v_add_f32_e32 v15, v8, v10
	v_fmamk_f32 v39, v36, 0x3f737871, v33
	v_fmac_f32_e32 v33, 0xbf737871, v36
	v_fmamk_f32 v69, v40, 0xbf737871, v122
	v_fmac_f32_e32 v122, 0x3f737871, v40
	v_fma_f32 v54, -0.5, v15, v132
	v_dual_fmac_f32 v132, -0.5, v25 :: v_dual_fmamk_f32 v15, v34, 0x3f737871, v53
	v_fmac_f32_e32 v53, 0xbf737871, v34
	v_fmac_f32_e32 v39, 0x3f167918, v40
	v_sub_f32_e32 v25, v8, v136
	s_delay_alu instid0(VALU_DEP_4)
	v_fmamk_f32 v67, v35, 0x3f737871, v132
	v_fmac_f32_e32 v132, 0xbf737871, v35
	v_fmac_f32_e32 v53, 0xbf167918, v38
	;; [unrolled: 1-line block ×6, first 2 shown]
	v_sub_f32_e32 v40, v72, v64
	v_fmamk_f32 v14, v31, 0xbf737871, v54
	v_dual_fmac_f32 v54, 0x3f737871, v31 :: v_dual_sub_f32 v31, v32, v37
	v_dual_sub_f32 v37, v84, v59 :: v_dual_sub_f32 v28, v10, v12
	v_fmac_f32_e32 v53, 0x3e9e377a, v24
	s_delay_alu instid0(VALU_DEP_3)
	v_fmac_f32_e32 v54, 0x3f167918, v35
	v_fmac_f32_e32 v33, 0x3e9e377a, v22
	;; [unrolled: 1-line block ×3, first 2 shown]
	v_add_f32_e32 v25, v25, v28
	v_fmac_f32_e32 v122, 0xbf167918, v36
	v_fmac_f32_e32 v54, 0x3e9e377a, v29
	v_add_f32_e32 v36, v121, v82
	v_sub_f32_e32 v80, v63, v57
	v_fmac_f32_e32 v67, 0x3e9e377a, v25
	v_fmac_f32_e32 v132, 0x3e9e377a, v25
	v_mul_f32_e32 v25, 0x3f4f1bbd, v53
	v_fmac_f32_e32 v15, 0x3f167918, v38
	v_add_f32_e32 v85, v83, v30
	v_fmac_f32_e32 v69, 0x3e9e377a, v60
	v_fmac_f32_e32 v122, 0x3e9e377a, v60
	v_fma_f32 v22, 0x3f167918, v54, -v25
	v_fmac_f32_e32 v15, 0x3e9e377a, v24
	ds_load_b32 v55, v97
	ds_load_b32 v47, v101
	global_wb scope:SCOPE_SE
	s_wait_dscnt 0x0
	s_barrier_signal -1
	v_add_f32_e32 v32, v33, v22
	v_dual_sub_f32 v22, v33, v22 :: v_dual_add_f32 v33, v68, v63
	s_barrier_wait -1
	global_inv scope:SCOPE_SE
	v_add_f32_e32 v36, v36, v68
	v_sub_f32_e32 v127, v16, v9
	v_fma_f32 v33, -0.5, v33, v121
	v_fmac_f32_e32 v121, -0.5, v78
	v_sub_f32_e32 v78, v68, v82
	v_dual_fmac_f32 v129, 0xbf167918, v34 :: v_dual_sub_f32 v34, v46, v56
	v_add_f32_e32 v36, v36, v63
	s_delay_alu instid0(VALU_DEP_4) | instskip(SKIP_1) | instid1(VALU_DEP_4)
	v_fmamk_f32 v81, v40, 0xbf737871, v121
	v_fmac_f32_e32 v14, 0xbf167918, v35
	v_dual_add_f32 v78, v78, v80 :: v_dual_fmac_f32 v129, 0x3e9e377a, v19
	v_fmac_f32_e32 v121, 0x3f737871, v40
	s_delay_alu instid0(VALU_DEP_4) | instskip(NEXT) | instid1(VALU_DEP_4)
	v_fmac_f32_e32 v81, 0x3f167918, v37
	v_fmac_f32_e32 v14, 0x3e9e377a, v29
	v_dual_mul_f32 v19, 0x3f737871, v67 :: v_dual_add_f32 v38, v62, v56
	s_delay_alu instid0(VALU_DEP_4) | instskip(NEXT) | instid1(VALU_DEP_4)
	v_fmac_f32_e32 v121, 0xbf167918, v37
	v_fmac_f32_e32 v81, 0x3e9e377a, v78
	s_delay_alu instid0(VALU_DEP_4)
	v_mul_f32_e32 v41, 0x3f167918, v14
	v_mul_f32_e32 v24, 0x3e9e377a, v129
	v_fmac_f32_e32 v19, 0x3e9e377a, v61
	v_fmac_f32_e32 v121, 0x3e9e377a, v78
	v_lshlrev_b32_e32 v35, 2, v131
	v_fmac_f32_e32 v41, 0x3f4f1bbd, v15
	v_fma_f32 v24, 0x3f737871, v132, -v24
	v_add_f32_e32 v28, v69, v19
	v_dual_add_f32 v36, v36, v57 :: v_dual_sub_f32 v19, v69, v19
	s_delay_alu instid0(VALU_DEP_4) | instskip(NEXT) | instid1(VALU_DEP_4)
	v_add_f32_e32 v25, v39, v41
	v_add_f32_e32 v29, v122, v24
	ds_store_2addr_b32 v52, v73, v25 offset1:30
	ds_store_2addr_b32 v52, v28, v29 offset0:60 offset1:90
	ds_store_2addr_b32 v52, v32, v31 offset0:120 offset1:150
	v_dual_sub_f32 v28, v82, v68 :: v_dual_sub_f32 v29, v57, v63
	v_fma_f32 v73, -0.5, v38, v118
	v_fmamk_f32 v38, v37, 0x3f737871, v33
	v_fmac_f32_e32 v33, 0xbf737871, v37
	s_delay_alu instid0(VALU_DEP_4) | instskip(SKIP_2) | instid1(VALU_DEP_4)
	v_dual_sub_f32 v31, v83, v26 :: v_dual_add_f32 v28, v28, v29
	v_and_b32_e32 v29, 0xffff, v125
	v_sub_f32_e32 v25, v39, v41
	v_dual_fmac_f32 v33, 0xbf167918, v40 :: v_dual_sub_f32 v32, v30, v17
	v_sub_f32_e32 v39, v26, v17
	s_delay_alu instid0(VALU_DEP_4) | instskip(SKIP_1) | instid1(VALU_DEP_4)
	v_mul_u32_u24_e32 v29, 0x4b0, v29
	v_sub_f32_e32 v41, v62, v56
	v_fmac_f32_e32 v33, 0x3e9e377a, v28
	v_add_f32_e32 v31, v31, v32
	v_sub_f32_e32 v32, v71, v62
	v_add3_u32 v60, 0, v29, v35
	v_add_f32_e32 v29, v26, v17
	v_sub_f32_e32 v35, v83, v30
	v_add_f32_e32 v37, v4, v44
	v_add_f32_e32 v32, v32, v34
	;; [unrolled: 1-line block ×3, first 2 shown]
	v_fma_f32 v74, -0.5, v29, v70
	v_sub_f32_e32 v29, v71, v46
	v_fmamk_f32 v76, v35, 0xbf737871, v73
	v_fmac_f32_e32 v70, -0.5, v85
	v_add_f32_e32 v34, v34, v26
	s_delay_alu instid0(VALU_DEP_4) | instskip(NEXT) | instid1(VALU_DEP_4)
	v_dual_sub_f32 v26, v26, v83 :: v_dual_fmamk_f32 v77, v29, 0x3f737871, v74
	v_fmac_f32_e32 v76, 0xbf167918, v39
	v_add_f32_e32 v83, v118, v71
	s_delay_alu instid0(VALU_DEP_4) | instskip(SKIP_3) | instid1(VALU_DEP_4)
	v_dual_add_f32 v34, v34, v17 :: v_dual_sub_f32 v17, v17, v30
	v_fmac_f32_e32 v74, 0xbf737871, v29
	v_fmac_f32_e32 v77, 0x3f167918, v41
	;; [unrolled: 1-line block ×3, first 2 shown]
	v_add_f32_e32 v34, v34, v30
	v_add_f32_e32 v30, v71, v46
	v_dual_fmamk_f32 v80, v41, 0xbf737871, v70 :: v_dual_add_f32 v17, v26, v17
	v_fmac_f32_e32 v70, 0x3f737871, v41
	v_sub_f32_e32 v26, v62, v71
	s_delay_alu instid0(VALU_DEP_4) | instskip(SKIP_3) | instid1(VALU_DEP_4)
	v_fmac_f32_e32 v118, -0.5, v30
	v_dual_sub_f32 v30, v56, v46 :: v_dual_fmac_f32 v73, 0x3f737871, v35
	v_fmac_f32_e32 v74, 0xbf167918, v41
	v_fmac_f32_e32 v77, 0x3e9e377a, v31
	v_fmamk_f32 v71, v39, 0x3f737871, v118
	v_fmac_f32_e32 v118, 0xbf737871, v39
	v_dual_mul_f32 v79, 0x3f167918, v76 :: v_dual_add_f32 v26, v26, v30
	v_fmac_f32_e32 v73, 0x3f167918, v39
	s_delay_alu instid0(VALU_DEP_4) | instskip(NEXT) | instid1(VALU_DEP_4)
	v_fmac_f32_e32 v71, 0xbf167918, v35
	v_fmac_f32_e32 v118, 0x3f167918, v35
	v_dual_fmac_f32 v74, 0x3e9e377a, v31 :: v_dual_sub_f32 v35, v6, v42
	v_dual_fmac_f32 v38, 0x3f167918, v40 :: v_dual_add_f32 v41, v75, v23
	v_fmac_f32_e32 v70, 0xbf167918, v29
	v_fmac_f32_e32 v79, 0x3f4f1bbd, v77
	;; [unrolled: 1-line block ×3, first 2 shown]
	s_delay_alu instid0(VALU_DEP_4) | instskip(NEXT) | instid1(VALU_DEP_4)
	v_dual_fmac_f32 v38, 0x3e9e377a, v28 :: v_dual_fmac_f32 v71, 0x3e9e377a, v26
	v_dual_fmac_f32 v70, 0x3e9e377a, v17 :: v_dual_fmac_f32 v73, 0x3e9e377a, v32
	v_mul_f32_e32 v29, 0x3f4f1bbd, v74
	s_delay_alu instid0(VALU_DEP_4)
	v_fmac_f32_e32 v80, 0x3e9e377a, v17
	v_fmac_f32_e32 v118, 0x3e9e377a, v26
	v_mul_f32_e32 v17, 0x3f737871, v71
	v_mul_f32_e32 v26, 0x3e9e377a, v70
	v_fma_f32 v28, 0x3f167918, v73, -v29
	v_add_f32_e32 v29, v38, v79
	v_sub_f32_e32 v24, v122, v24
	v_fmac_f32_e32 v17, 0x3e9e377a, v80
	v_fma_f32 v26, 0x3f737871, v118, -v26
	v_add_nc_u32_e32 v69, 0x200, v52
	v_dual_sub_f32 v39, v58, v44 :: v_dual_add_f32 v122, v36, v34
	s_delay_alu instid0(VALU_DEP_4) | instskip(NEXT) | instid1(VALU_DEP_4)
	v_add_f32_e32 v30, v81, v17
	v_add_f32_e32 v31, v121, v26
	v_sub_f32_e32 v32, v36, v34
	v_add_f32_e32 v34, v33, v28
	ds_store_2addr_b32 v52, v25, v19 offset0:180 offset1:210
	ds_store_2addr_b32 v69, v24, v22 offset0:112 offset1:142
	ds_store_2addr_b32 v60, v122, v29 offset1:30
	ds_store_2addr_b32 v60, v30, v31 offset0:60 offset1:90
	ds_store_2addr_b32 v60, v34, v32 offset0:120 offset1:150
	v_sub_f32_e32 v19, v38, v79
	v_sub_f32_e32 v17, v81, v17
	;; [unrolled: 1-line block ×3, first 2 shown]
	v_dual_sub_f32 v25, v44, v58 :: v_dual_mul_f32 v134, 0xbf167918, v15
	v_add_f32_e32 v31, v120, v4
	ds_store_2addr_b32 v60, v19, v17 offset0:180 offset1:210
	v_dual_sub_f32 v28, v33, v28 :: v_dual_add_f32 v17, v24, v25
	v_add_f32_e32 v25, v1, v58
	v_fmac_f32_e32 v134, 0x3f4f1bbd, v14
	v_dual_sub_f32 v36, v0, v7 :: v_dual_sub_f32 v33, v5, v45
	v_sub_f32_e32 v29, v23, v18
	s_delay_alu instid0(VALU_DEP_4) | instskip(SKIP_3) | instid1(VALU_DEP_3)
	v_fma_f32 v25, -0.5, v25, v120
	v_dual_fmac_f32 v120, -0.5, v37 :: v_dual_sub_f32 v37, v1, v4
	v_lshlrev_b32_e32 v30, 2, v124
	v_add_f32_e32 v32, v6, v42
	v_dual_add_f32 v137, v133, v66 :: v_dual_fmamk_f32 v40, v36, 0xbf737871, v120
	s_delay_alu instid0(VALU_DEP_4) | instskip(SKIP_2) | instid1(VALU_DEP_4)
	v_add_f32_e32 v37, v37, v39
	v_mul_f32_e32 v61, 0xbf737871, v61
	v_dual_sub_f32 v63, v68, v63 :: v_dual_add_f32 v8, v21, v8
	v_fmac_f32_e32 v40, 0x3f167918, v33
	s_delay_alu instid0(VALU_DEP_3) | instskip(SKIP_1) | instid1(VALU_DEP_4)
	v_dual_sub_f32 v24, v13, v6 :: v_dual_fmac_f32 v61, 0x3e9e377a, v67
	v_fmac_f32_e32 v120, 0x3f737871, v36
	v_add_f32_e32 v8, v8, v10
	s_delay_alu instid0(VALU_DEP_4)
	v_fmac_f32_e32 v40, 0x3e9e377a, v37
	v_sub_f32_e32 v22, v121, v26
	v_sub_f32_e32 v26, v75, v27
	v_fmac_f32_e32 v120, 0xbf167918, v33
	v_dual_add_f32 v34, v2, v75 :: v_dual_add_f32 v135, v8, v12
	v_fma_f32 v79, -0.5, v32, v3
	s_delay_alu instid0(VALU_DEP_4)
	v_add_f32_e32 v19, v26, v29
	v_mul_u32_u24_e32 v29, 0x4b0, v123
	v_fmac_f32_e32 v120, 0x3e9e377a, v37
	v_add_f32_e32 v34, v34, v27
	v_sub_f32_e32 v32, v75, v23
	v_add_f32_e32 v124, v3, v13
	v_add3_u32 v81, 0, v29, v30
	v_dual_add_f32 v30, v31, v1 :: v_dual_fmamk_f32 v31, v33, 0x3f737871, v25
	v_dual_fmac_f32 v25, 0xbf737871, v33 :: v_dual_add_f32 v34, v34, v18
	v_sub_f32_e32 v29, v27, v18
	s_delay_alu instid0(VALU_DEP_3) | instskip(NEXT) | instid1(VALU_DEP_3)
	v_dual_add_f32 v30, v30, v58 :: v_dual_fmamk_f32 v121, v32, 0xbf737871, v79
	v_dual_fmac_f32 v25, 0xbf167918, v36 :: v_dual_add_f32 v34, v34, v23
	v_mul_f32_e32 v54, 0x3f4f1bbd, v54
	s_delay_alu instid0(VALU_DEP_3) | instskip(NEXT) | instid1(VALU_DEP_3)
	v_dual_add_f32 v30, v30, v44 :: v_dual_fmac_f32 v121, 0xbf167918, v29
	v_dual_fmac_f32 v25, 0x3e9e377a, v17 :: v_dual_sub_f32 v26, v43, v42
	s_delay_alu instid0(VALU_DEP_3)
	v_fma_f32 v53, 0xbf167918, v53, -v54
	v_fmac_f32_e32 v79, 0x3f737871, v32
	v_fmac_f32_e32 v31, 0x3f167918, v36
	v_add_f32_e32 v123, v30, v34
	v_add_f32_e32 v24, v24, v26
	;; [unrolled: 1-line block ×3, first 2 shown]
	v_sub_f32_e32 v18, v18, v23
	v_add_f32_e32 v23, v13, v43
	v_sub_f32_e32 v27, v27, v75
	v_fmac_f32_e32 v121, 0x3e9e377a, v24
	v_fma_f32 v85, -0.5, v26, v2
	s_delay_alu instid0(VALU_DEP_4) | instskip(SKIP_2) | instid1(VALU_DEP_3)
	v_dual_fmac_f32 v2, -0.5, v41 :: v_dual_fmac_f32 v3, -0.5, v23
	v_dual_sub_f32 v26, v13, v43 :: v_dual_sub_f32 v13, v6, v13
	v_sub_f32_e32 v23, v42, v43
	v_fmamk_f32 v75, v35, 0xbf737871, v2
	s_delay_alu instid0(VALU_DEP_4) | instskip(NEXT) | instid1(VALU_DEP_4)
	v_dual_fmac_f32 v2, 0x3f737871, v35 :: v_dual_fmamk_f32 v125, v29, 0x3f737871, v3
	v_fmamk_f32 v122, v26, 0x3f737871, v85
	v_fmac_f32_e32 v85, 0xbf737871, v26
	v_add_f32_e32 v18, v27, v18
	s_delay_alu instid0(VALU_DEP_4)
	v_fmac_f32_e32 v2, 0xbf167918, v26
	v_fmac_f32_e32 v3, 0xbf737871, v29
	v_add_f32_e32 v13, v13, v23
	v_fmac_f32_e32 v125, 0xbf167918, v32
	v_fmac_f32_e32 v85, 0xbf167918, v35
	v_dual_fmac_f32 v122, 0x3f167918, v35 :: v_dual_fmac_f32 v75, 0x3f167918, v26
	v_fmac_f32_e32 v3, 0x3f167918, v32
	s_delay_alu instid0(VALU_DEP_4)
	v_dual_fmac_f32 v2, 0x3e9e377a, v18 :: v_dual_fmac_f32 v125, 0x3e9e377a, v13
	v_fmac_f32_e32 v79, 0x3f167918, v29
	v_fmac_f32_e32 v85, 0x3e9e377a, v19
	;; [unrolled: 1-line block ×3, first 2 shown]
	v_mul_f32_e32 v38, 0x3f167918, v121
	v_fmac_f32_e32 v75, 0x3e9e377a, v18
	v_fmac_f32_e32 v3, 0x3e9e377a, v13
	v_mul_f32_e32 v13, 0x3f737871, v125
	v_dual_mul_f32 v18, 0x3e9e377a, v2 :: v_dual_fmac_f32 v79, 0x3e9e377a, v24
	v_mul_f32_e32 v19, 0x3f4f1bbd, v85
	v_fmac_f32_e32 v31, 0x3e9e377a, v17
	v_fmac_f32_e32 v38, 0x3f4f1bbd, v122
	;; [unrolled: 1-line block ×3, first 2 shown]
	v_fma_f32 v18, 0x3f737871, v3, -v18
	v_fma_f32 v17, 0x3f167918, v79, -v19
	s_delay_alu instid0(VALU_DEP_4) | instskip(NEXT) | instid1(VALU_DEP_4)
	v_dual_add_f32 v23, v31, v38 :: v_dual_add_nc_u32 v78, 0x200, v60
	v_add_f32_e32 v19, v40, v13
	s_delay_alu instid0(VALU_DEP_4) | instskip(NEXT) | instid1(VALU_DEP_4)
	v_add_f32_e32 v24, v120, v18
	v_dual_sub_f32 v26, v30, v34 :: v_dual_add_f32 v29, v25, v17
	v_sub_f32_e32 v27, v31, v38
	v_sub_f32_e32 v13, v40, v13
	ds_store_2addr_b32 v78, v22, v28 offset0:112 offset1:142
	ds_store_2addr_b32 v81, v123, v23 offset1:30
	ds_store_2addr_b32 v81, v19, v24 offset0:60 offset1:90
	ds_store_2addr_b32 v81, v29, v26 offset0:120 offset1:150
	;; [unrolled: 1-line block ×3, first 2 shown]
	v_sub_f32_e32 v123, v20, v11
	v_add_f32_e32 v11, v55, v133
	v_sub_f32_e32 v13, v120, v18
	v_add_f32_e32 v18, v128, v65
	v_sub_f32_e32 v19, v66, v65
	v_sub_f32_e32 v17, v25, v17
	v_dual_add_f32 v9, v11, v128 :: v_dual_add_nc_u32 v120, 0x200, v81
	s_delay_alu instid0(VALU_DEP_4) | instskip(SKIP_1) | instid1(VALU_DEP_3)
	v_fma_f32 v126, -0.5, v18, v55
	v_dual_fmac_f32 v55, -0.5, v137 :: v_dual_sub_f32 v18, v133, v128
	v_add_f32_e32 v9, v9, v65
	v_dual_sub_f32 v128, v128, v133 :: v_dual_sub_f32 v65, v65, v66
	s_delay_alu instid0(VALU_DEP_4) | instskip(SKIP_1) | instid1(VALU_DEP_4)
	v_fmamk_f32 v130, v123, 0xbf737871, v126
	v_fmac_f32_e32 v126, 0x3f737871, v123
	v_add_f32_e32 v136, v9, v66
	v_fmamk_f32 v66, v127, 0x3f737871, v55
	v_fmac_f32_e32 v55, 0xbf737871, v127
	v_add_f32_e32 v65, v128, v65
	v_add_f32_e32 v131, v18, v19
	v_fmac_f32_e32 v130, 0xbf167918, v127
	v_fmac_f32_e32 v66, 0xbf167918, v123
	;; [unrolled: 1-line block ×3, first 2 shown]
	v_mul_f32_e32 v123, 0x3e9e377a, v132
	v_fmac_f32_e32 v126, 0x3f167918, v127
	v_fmac_f32_e32 v130, 0x3e9e377a, v131
	v_dual_fmac_f32 v66, 0x3e9e377a, v65 :: v_dual_sub_f32 v1, v1, v58
	v_fmac_f32_e32 v55, 0x3e9e377a, v65
	v_fma_f32 v65, 0xbf737871, v129, -v123
	s_delay_alu instid0(VALU_DEP_4) | instskip(SKIP_2) | instid1(VALU_DEP_4)
	v_dual_add_f32 v128, v136, v135 :: v_dual_add_f32 v133, v130, v134
	v_sub_f32_e32 v4, v4, v44
	v_add_f32_e32 v54, v66, v61
	v_add_f32_e32 v67, v55, v65
	v_sub_f32_e32 v55, v55, v65
	v_dual_add_f32 v65, v5, v45 :: v_dual_fmac_f32 v126, 0x3e9e377a, v131
	v_sub_f32_e32 v123, v136, v135
	v_lshl_add_u32 v28, v88, 2, 0
	v_lshl_add_u32 v29, v89, 2, 0
	ds_store_2addr_b32 v120, v13, v17 offset0:112 offset1:142
	v_add_f32_e32 v127, v126, v53
	global_wb scope:SCOPE_SE
	s_wait_dscnt 0x0
	s_barrier_signal -1
	s_barrier_wait -1
	global_inv scope:SCOPE_SE
	v_lshl_add_u32 v30, v91, 2, 0
	v_lshl_add_u32 v31, v92, 2, 0
	ds_load_b32 v41, v97
	ds_load_b32 v40, v101
	;; [unrolled: 1-line block ×10, first 2 shown]
	ds_load_2addr_b32 v[26:27], v108 offset0:132 offset1:222
	ds_load_2addr_b32 v[24:25], v105 offset0:8 offset1:98
	;; [unrolled: 1-line block ×10, first 2 shown]
	global_wb scope:SCOPE_SE
	s_wait_dscnt 0x0
	s_barrier_signal -1
	s_barrier_wait -1
	global_inv scope:SCOPE_SE
	ds_store_2addr_b32 v52, v128, v133 offset1:30
	v_sub_f32_e32 v128, v130, v134
	v_sub_f32_e32 v61, v66, v61
	ds_store_2addr_b32 v52, v54, v67 offset0:60 offset1:90
	ds_store_2addr_b32 v52, v127, v123 offset0:120 offset1:150
	v_dual_add_f32 v54, v47, v84 :: v_dual_sub_f32 v53, v126, v53
	ds_store_2addr_b32 v52, v128, v61 offset0:180 offset1:210
	ds_store_2addr_b32 v69, v55, v53 offset0:112 offset1:142
	v_dual_sub_f32 v52, v82, v57 :: v_dual_sub_f32 v53, v84, v72
	v_add_f32_e32 v54, v54, v72
	v_sub_f32_e32 v55, v59, v64
	v_add_f32_e32 v57, v72, v64
	v_dual_add_f32 v61, v84, v59 :: v_dual_add_f32 v62, v83, v62
	s_delay_alu instid0(VALU_DEP_3) | instskip(NEXT) | instid1(VALU_DEP_3)
	v_dual_add_f32 v54, v54, v64 :: v_dual_add_f32 v53, v53, v55
	v_fma_f32 v55, -0.5, v57, v47
	s_delay_alu instid0(VALU_DEP_3) | instskip(NEXT) | instid1(VALU_DEP_3)
	v_fmac_f32_e32 v47, -0.5, v61
	v_dual_sub_f32 v57, v72, v84 :: v_dual_add_f32 v54, v54, v59
	v_sub_f32_e32 v59, v64, v59
	v_add_f32_e32 v6, v124, v6
	s_delay_alu instid0(VALU_DEP_4) | instskip(SKIP_3) | instid1(VALU_DEP_4)
	v_fmamk_f32 v64, v63, 0x3f737871, v47
	v_fmac_f32_e32 v47, 0xbf737871, v63
	v_fmamk_f32 v61, v52, 0xbf737871, v55
	v_fmac_f32_e32 v55, 0x3f737871, v52
	v_dual_add_f32 v57, v57, v59 :: v_dual_fmac_f32 v64, 0xbf167918, v52
	s_delay_alu instid0(VALU_DEP_4) | instskip(NEXT) | instid1(VALU_DEP_4)
	v_fmac_f32_e32 v47, 0x3f167918, v52
	v_fmac_f32_e32 v61, 0xbf167918, v63
	s_delay_alu instid0(VALU_DEP_4) | instskip(NEXT) | instid1(VALU_DEP_4)
	v_dual_fmac_f32 v55, 0x3f167918, v63 :: v_dual_add_f32 v52, v62, v56
	v_dual_mul_f32 v3, 0x3e9e377a, v3 :: v_dual_fmac_f32 v64, 0x3e9e377a, v57
	s_delay_alu instid0(VALU_DEP_4)
	v_fmac_f32_e32 v47, 0x3e9e377a, v57
	v_mul_f32_e32 v57, 0x3e9e377a, v118
	v_fmac_f32_e32 v61, 0x3e9e377a, v53
	v_fmac_f32_e32 v55, 0x3e9e377a, v53
	v_mul_f32_e32 v53, 0xbf167918, v77
	v_mul_f32_e32 v56, 0xbf737871, v80
	v_dual_mul_f32 v59, 0x3f4f1bbd, v73 :: v_dual_add_f32 v46, v52, v46
	v_fma_f32 v52, 0xbf737871, v70, -v57
	s_delay_alu instid0(VALU_DEP_4) | instskip(NEXT) | instid1(VALU_DEP_4)
	v_fmac_f32_e32 v53, 0x3f4f1bbd, v76
	v_fmac_f32_e32 v56, 0x3e9e377a, v71
	s_delay_alu instid0(VALU_DEP_4) | instskip(NEXT) | instid1(VALU_DEP_4)
	v_fma_f32 v57, 0xbf167918, v74, -v59
	v_dual_add_f32 v59, v54, v46 :: v_dual_add_f32 v62, v47, v52
	v_sub_f32_e32 v47, v47, v52
	v_add_f32_e32 v52, v119, v5
	v_sub_f32_e32 v46, v54, v46
	v_add_f32_e32 v54, v61, v53
	;; [unrolled: 2-line block ×3, first 2 shown]
	v_dual_sub_f32 v56, v64, v56 :: v_dual_add_f32 v63, v55, v57
	v_dual_sub_f32 v55, v55, v57 :: v_dual_sub_f32 v44, v5, v0
	v_dual_add_f32 v52, v52, v0 :: v_dual_sub_f32 v57, v45, v7
	v_add_f32_e32 v64, v0, v7
	v_lshrrev_b16 v71, 2, v92
	v_sub_f32_e32 v0, v0, v5
	s_delay_alu instid0(VALU_DEP_4)
	v_add_f32_e32 v52, v52, v7
	v_add_f32_e32 v44, v44, v57
	v_fma_f32 v57, -0.5, v64, v119
	v_and_b32_e32 v71, 0xffff, v71
	v_fmac_f32_e32 v119, -0.5, v65
	v_add_f32_e32 v5, v52, v45
	v_sub_f32_e32 v7, v7, v45
	v_fmamk_f32 v45, v4, 0xbf737871, v57
	v_fmac_f32_e32 v57, 0x3f737871, v4
	v_fmamk_f32 v52, v1, 0x3f737871, v119
	s_delay_alu instid0(VALU_DEP_4) | instskip(NEXT) | instid1(VALU_DEP_4)
	v_dual_fmac_f32 v119, 0xbf737871, v1 :: v_dual_add_f32 v0, v0, v7
	v_fmac_f32_e32 v45, 0xbf167918, v1
	s_delay_alu instid0(VALU_DEP_4) | instskip(NEXT) | instid1(VALU_DEP_4)
	v_fmac_f32_e32 v57, 0x3f167918, v1
	v_fmac_f32_e32 v52, 0xbf167918, v4
	s_delay_alu instid0(VALU_DEP_4) | instskip(SKIP_2) | instid1(VALU_DEP_4)
	v_fmac_f32_e32 v119, 0x3f167918, v4
	v_dual_add_f32 v1, v6, v42 :: v_dual_mul_f32 v4, 0xbf737871, v75
	v_mul_f32_e32 v6, 0x3f4f1bbd, v79
	v_fmac_f32_e32 v52, 0x3e9e377a, v0
	s_delay_alu instid0(VALU_DEP_4) | instskip(SKIP_4) | instid1(VALU_DEP_4)
	v_fmac_f32_e32 v119, 0x3e9e377a, v0
	v_mul_f32_e32 v0, 0xbf167918, v122
	v_fmac_f32_e32 v45, 0x3e9e377a, v44
	v_dual_add_f32 v1, v1, v43 :: v_dual_fmac_f32 v4, 0x3e9e377a, v125
	v_fma_f32 v2, 0xbf737871, v2, -v3
	v_fmac_f32_e32 v0, 0x3f4f1bbd, v121
	v_fmac_f32_e32 v57, 0x3e9e377a, v44
	v_fma_f32 v6, 0xbf167918, v85, -v6
	v_dual_add_f32 v3, v5, v1 :: v_dual_add_f32 v42, v52, v4
	s_delay_alu instid0(VALU_DEP_4)
	v_dual_add_f32 v7, v45, v0 :: v_dual_add_f32 v44, v119, v2
	v_sub_f32_e32 v5, v5, v1
	v_sub_f32_e32 v43, v45, v0
	v_dual_add_f32 v45, v57, v6 :: v_dual_sub_f32 v4, v52, v4
	v_mov_b32_e32 v1, 0
	ds_store_2addr_b32 v60, v59, v54 offset1:30
	ds_store_2addr_b32 v60, v61, v62 offset0:60 offset1:90
	ds_store_2addr_b32 v60, v63, v46 offset0:120 offset1:150
	;; [unrolled: 1-line block ×4, first 2 shown]
	ds_store_2addr_b32 v81, v3, v7 offset1:30
	ds_store_2addr_b32 v81, v42, v44 offset0:60 offset1:90
	ds_store_2addr_b32 v81, v45, v5 offset0:120 offset1:150
	;; [unrolled: 1-line block ×3, first 2 shown]
	v_lshrrev_b16 v43, 2, v90
	v_lshlrev_b32_e32 v0, 1, v86
	v_sub_f32_e32 v52, v119, v2
	v_lshrrev_b16 v64, 2, v91
	v_lshrrev_b16 v72, 2, v93
	v_and_b32_e32 v43, 0xffff, v43
	v_lshlrev_b64_e32 v[2:3], 3, v[0:1]
	v_add_nc_u32_e32 v60, 0x78, v0
	v_add_nc_u32_e32 v0, 0x12c, v0
	v_and_b32_e32 v66, 0xffff, v64
	v_mul_u32_u24_e32 v43, 0x6d3b, v43
	v_mul_u32_u24_e32 v73, 0x6d3b, v71
	v_and_b32_e32 v72, 0xffff, v72
	v_lshlrev_b64_e32 v[68:69], 3, v[0:1]
	v_mul_u32_u24_e32 v70, 0x6d3b, v66
	v_lshrrev_b32_e32 v43, 21, v43
	v_lshlrev_b32_e32 v4, 1, v113
	v_mul_u32_u24_e32 v72, 0x6d3b, v72
	v_mov_b32_e32 v5, v1
	v_lshrrev_b32_e32 v70, 21, v70
	v_mul_lo_u16 v0, 0x12c, v43
	v_add_co_u32 v2, s0, s8, v2
	v_lshrrev_b32_e32 v76, 21, v72
	s_delay_alu instid0(VALU_DEP_4) | instskip(NEXT) | instid1(VALU_DEP_4)
	v_mul_lo_u16 v74, 0x12c, v70
	v_sub_nc_u16 v0, v90, v0
	v_lshlrev_b64_e32 v[4:5], 3, v[4:5]
	s_wait_alu 0xf1ff
	v_add_co_ci_u32_e64 v3, s0, s9, v3, s0
	v_mul_lo_u16 v80, 0x12c, v76
	v_and_b32_e32 v126, 0xffff, v0
	v_lshrrev_b32_e32 v0, 21, v73
	v_sub_nc_u16 v73, v91, v74
	v_add_co_u32 v4, s0, s8, v4
	v_sub_f32_e32 v6, v57, v6
	s_delay_alu instid0(VALU_DEP_4) | instskip(NEXT) | instid1(VALU_DEP_4)
	v_mul_lo_u16 v0, 0x12c, v0
	v_and_b32_e32 v127, 0xffff, v73
	s_wait_alu 0xf1ff
	v_add_co_ci_u32_e64 v5, s0, s9, v5, s0
	ds_store_2addr_b32 v120, v52, v6 offset0:112 offset1:142
	v_sub_nc_u16 v0, v92, v0
	global_wb scope:SCOPE_SE
	s_wait_dscnt 0x0
	s_barrier_signal -1
	s_barrier_wait -1
	global_inv scope:SCOPE_SE
	v_and_b32_e32 v128, 0xffff, v0
	v_sub_nc_u16 v0, v93, v80
	v_subrev_nc_u32_e32 v42, 30, v86
	s_clause 0x1
	global_load_b128 v[44:47], v[2:3], off offset:2376
	global_load_b128 v[52:55], v[4:5], off offset:2376
	v_cmp_gt_u32_e64 s0, 30, v86
	v_lshlrev_b32_e32 v77, 4, v127
	v_lshlrev_b32_e32 v80, 4, v128
	v_and_b32_e32 v129, 0xffff, v0
	v_mov_b32_e32 v7, v1
	s_wait_alu 0xf1ff
	v_cndmask_b32_e64 v42, v42, v87, s0
	s_clause 0x1
	global_load_b128 v[76:79], v77, s[8:9] offset:2376
	global_load_b128 v[80:83], v80, s[8:9] offset:2376
	v_lshlrev_b32_e32 v74, 4, v126
	v_lshlrev_b32_e32 v0, 4, v129
	v_dual_mov_b32 v57, v1 :: v_dual_lshlrev_b32 v6, 1, v114
	v_mov_b32_e32 v61, v1
	s_clause 0x1
	global_load_b128 v[72:75], v74, s[8:9] offset:2376
	global_load_b128 v[118:121], v0, s[8:9] offset:2376
	v_lshlrev_b32_e32 v56, 1, v42
	v_lshlrev_b64_e32 v[6:7], 3, v[6:7]
	v_lshlrev_b64_e32 v[60:61], 3, v[60:61]
	s_delay_alu instid0(VALU_DEP_3) | instskip(NEXT) | instid1(VALU_DEP_3)
	v_lshlrev_b64_e32 v[62:63], 3, v[56:57]
	v_add_co_u32 v6, s0, s8, v6
	s_wait_alu 0xf1ff
	s_delay_alu instid0(VALU_DEP_4) | instskip(NEXT) | instid1(VALU_DEP_3)
	v_add_co_ci_u32_e64 v7, s0, s9, v7, s0
	v_add_co_u32 v62, s0, s8, v62
	s_wait_alu 0xf1ff
	v_add_co_ci_u32_e64 v63, s0, s9, v63, s0
	global_load_b128 v[56:59], v[6:7], off offset:2376
	v_add_co_u32 v64, s0, s8, v60
	s_wait_alu 0xf1ff
	v_add_co_ci_u32_e64 v65, s0, s9, v61, s0
	global_load_b128 v[60:63], v[62:63], off offset:2376
	;; [unrolled: 4-line block ×3, first 2 shown]
	v_cmp_lt_u32_e64 s0, 29, v86
	global_load_b128 v[68:71], v[68:69], off offset:2376
	ds_load_2addr_b32 v[84:85], v108 offset0:132 offset1:222
	ds_load_2addr_b32 v[113:114], v105 offset0:8 offset1:98
	;; [unrolled: 1-line block ×4, first 2 shown]
	s_wait_loadcnt_dscnt 0x903
	v_mul_f32_e32 v0, v84, v45
	s_wait_dscnt 0x2
	v_dual_mul_f32 v130, v26, v45 :: v_dual_mul_f32 v45, v113, v47
	v_mul_f32_e32 v131, v24, v47
	s_delay_alu instid0(VALU_DEP_3)
	v_fma_f32 v132, v26, v44, -v0
	s_wait_loadcnt 0x8
	v_mul_f32_e32 v0, v85, v53
	v_fma_f32 v133, v24, v46, -v45
	v_fmac_f32_e32 v130, v84, v44
	v_dual_mul_f32 v84, v27, v53 :: v_dual_fmac_f32 v131, v113, v46
	s_delay_alu instid0(VALU_DEP_4) | instskip(SKIP_2) | instid1(VALU_DEP_4)
	v_fma_f32 v113, v27, v52, -v0
	v_mul_f32_e32 v0, v114, v55
	v_mul_f32_e32 v55, v25, v55
	v_fmac_f32_e32 v84, v85, v52
	ds_load_2addr_b32 v[26:27], v103 offset0:108 offset1:198
	s_wait_loadcnt 0x5
	v_mul_f32_e32 v53, v14, v73
	v_fma_f32 v85, v25, v54, -v0
	ds_load_2addr_b32 v[24:25], v106 offset0:112 offset1:202
	v_fmac_f32_e32 v55, v114, v54
	v_mul_f32_e32 v45, v10, v81
	s_wait_loadcnt_dscnt 0x303
	v_mul_f32_e32 v44, v122, v57
	s_wait_dscnt 0x2
	v_dual_mul_f32 v57, v22, v57 :: v_dual_mul_f32 v0, v124, v59
	v_mul_f32_e32 v59, v20, v59
	s_delay_alu instid0(VALU_DEP_3) | instskip(SKIP_1) | instid1(VALU_DEP_3)
	v_fma_f32 v54, v22, v56, -v44
	s_wait_loadcnt 0x2
	v_dual_fmac_f32 v57, v122, v56 :: v_dual_mul_f32 v22, v123, v61
	v_mul_f32_e32 v56, v23, v61
	v_mul_f32_e32 v44, v125, v63
	v_fma_f32 v61, v20, v58, -v0
	v_fmac_f32_e32 v59, v124, v58
	v_fma_f32 v58, v23, v60, -v22
	v_fmac_f32_e32 v56, v123, v60
	v_fma_f32 v60, v21, v62, -v44
	s_wait_loadcnt_dscnt 0x100
	v_mul_f32_e32 v44, v24, v67
	v_dual_mul_f32 v46, v16, v67 :: v_dual_add_nc_u32 v123, 0xe00, v97
	s_wait_loadcnt 0x0
	v_mul_f32_e32 v67, v17, v71
	v_mul_f32_e32 v63, v21, v63
	ds_load_2addr_b32 v[22:23], v107 offset0:36 offset1:126
	v_mul_f32_e32 v52, v18, v65
	ds_load_2addr_b32 v[20:21], v111 offset0:160 offset1:250
	v_dual_fmac_f32 v67, v25, v70 :: v_dual_mul_f32 v0, v26, v65
	v_dual_fmac_f32 v63, v125, v62 :: v_dual_fmac_f32 v52, v26, v64
	v_fma_f32 v65, v16, v66, -v44
	v_fmac_f32_e32 v46, v24, v66
	s_delay_alu instid0(VALU_DEP_4) | instskip(SKIP_4) | instid1(VALU_DEP_4)
	v_fma_f32 v62, v18, v64, -v0
	v_mul_f32_e32 v0, v27, v69
	v_mul_f32_e32 v64, v19, v69
	;; [unrolled: 1-line block ×3, first 2 shown]
	v_dual_mul_f32 v44, v12, v75 :: v_dual_mul_f32 v71, v15, v77
	v_fma_f32 v66, v19, v68, -v0
	ds_load_2addr_b32 v[18:19], v104 offset0:84 offset1:174
	v_fmac_f32_e32 v64, v27, v68
	v_fma_f32 v68, v17, v70, -v16
	ds_load_2addr_b32 v[16:17], v112 offset0:88 offset1:178
	s_wait_dscnt 0x3
	v_mul_f32_e32 v24, v22, v75
	v_fmac_f32_e32 v44, v22, v74
	s_wait_dscnt 0x2
	v_dual_mul_f32 v0, v20, v73 :: v_dual_mul_f32 v73, v13, v79
	v_fmac_f32_e32 v53, v20, v72
	v_fma_f32 v70, v12, v74, -v24
	v_mul_f32_e32 v12, v23, v79
	s_delay_alu instid0(VALU_DEP_4)
	v_fma_f32 v69, v14, v72, -v0
	v_mul_f32_e32 v0, v21, v77
	v_fmac_f32_e32 v71, v21, v76
	v_fmac_f32_e32 v73, v23, v78
	v_fma_f32 v74, v13, v78, -v12
	v_mul_f32_e32 v78, v9, v121
	v_fma_f32 v72, v15, v76, -v0
	v_mul_f32_e32 v0, v8, v83
	v_mul_f32_e32 v76, v11, v119
	s_wait_dscnt 0x1
	v_mul_f32_e32 v12, v18, v81
	v_fmac_f32_e32 v45, v18, v80
	v_add_f32_e32 v15, v38, v58
	s_wait_dscnt 0x0
	v_mul_f32_e32 v13, v16, v83
	v_fmac_f32_e32 v0, v16, v82
	v_fma_f32 v47, v10, v80, -v12
	v_mul_f32_e32 v10, v19, v119
	s_delay_alu instid0(VALU_DEP_4) | instskip(SKIP_1) | instid1(VALU_DEP_3)
	v_fma_f32 v75, v8, v82, -v13
	v_dual_add_f32 v8, v132, v133 :: v_dual_add_f32 v13, v58, v60
	v_fma_f32 v77, v11, v118, -v10
	v_add_f32_e32 v11, v41, v132
	s_delay_alu instid0(VALU_DEP_3) | instskip(SKIP_2) | instid1(VALU_DEP_4)
	v_dual_mul_f32 v10, v17, v121 :: v_dual_fmac_f32 v41, -0.5, v8
	v_fmac_f32_e32 v78, v17, v120
	v_fmac_f32_e32 v38, -0.5, v13
	v_dual_add_f32 v11, v11, v133 :: v_dual_sub_f32 v8, v130, v131
	s_delay_alu instid0(VALU_DEP_4)
	v_fma_f32 v79, v9, v120, -v10
	v_dual_add_f32 v9, v113, v85 :: v_dual_fmac_f32 v76, v19, v118
	ds_load_b32 v80, v97
	ds_load_b32 v81, v101
	;; [unrolled: 1-line block ×10, first 2 shown]
	v_fmamk_f32 v10, v8, 0x3f5db3d7, v41
	v_dual_fmac_f32 v41, 0xbf5db3d7, v8 :: v_dual_add_f32 v8, v40, v113
	v_dual_fmac_f32 v40, -0.5, v9 :: v_dual_sub_f32 v9, v84, v55
	global_wb scope:SCOPE_SE
	s_wait_dscnt 0x0
	s_barrier_signal -1
	v_add_f32_e32 v8, v8, v85
	s_barrier_wait -1
	v_fmamk_f32 v16, v9, 0x3f5db3d7, v40
	v_fmac_f32_e32 v40, 0xbf5db3d7, v9
	global_inv scope:SCOPE_SE
	ds_store_b32 v97, v11
	ds_store_b32 v97, v10 offset:1200
	ds_store_b32 v97, v41 offset:2400
	ds_store_b32 v101, v8
	ds_store_b32 v101, v16 offset:1200
	ds_store_b32 v101, v40 offset:2400
	v_dual_add_f32 v8, v15, v60 :: v_dual_add_f32 v15, v34, v77
	v_add_f32_e32 v12, v54, v61
	v_dual_add_f32 v14, v39, v54 :: v_dual_sub_f32 v13, v56, v63
	v_lshlrev_b32_e32 v10, 2, v42
	s_wait_alu 0xf1ff
	v_cndmask_b32_e64 v11, 0, 0xe10, s0
	v_dual_fmac_f32 v39, -0.5, v12 :: v_dual_sub_f32 v12, v57, v59
	v_mul_u32_u24_e32 v16, 0xe10, v43
	v_lshlrev_b32_e32 v17, 2, v126
	s_delay_alu instid0(VALU_DEP_4) | instskip(NEXT) | instid1(VALU_DEP_4)
	v_add3_u32 v42, 0, v11, v10
	v_dual_add_f32 v10, v62, v65 :: v_dual_fmamk_f32 v9, v12, 0x3f5db3d7, v39
	v_fmac_f32_e32 v39, 0xbf5db3d7, v12
	v_fmamk_f32 v12, v13, 0x3f5db3d7, v38
	v_fmac_f32_e32 v38, 0xbf5db3d7, v13
	v_add_f32_e32 v13, v14, v61
	ds_store_b32 v109, v13
	ds_store_b32 v109, v9 offset:1200
	ds_store_b32 v109, v39 offset:2400
	v_add_f32_e32 v9, v66, v68
	v_add_f32_e32 v11, v36, v62
	;; [unrolled: 1-line block ×3, first 2 shown]
	v_fmac_f32_e32 v36, -0.5, v10
	s_delay_alu instid0(VALU_DEP_4) | instskip(SKIP_2) | instid1(VALU_DEP_3)
	v_dual_sub_f32 v10, v52, v46 :: v_dual_fmac_f32 v37, -0.5, v9
	v_sub_f32_e32 v9, v64, v67
	v_add_f32_e32 v11, v11, v65
	v_dual_add_f32 v13, v13, v68 :: v_dual_fmamk_f32 v14, v10, 0x3f5db3d7, v36
	v_fmac_f32_e32 v36, 0xbf5db3d7, v10
	s_delay_alu instid0(VALU_DEP_4)
	v_fmamk_f32 v10, v9, 0x3f5db3d7, v37
	ds_store_b32 v42, v8
	ds_store_b32 v42, v12 offset:1200
	ds_store_b32 v42, v38 offset:2400
	ds_store_2addr_b32 v123, v11, v13 offset0:64 offset1:154
	v_dual_add_f32 v8, v130, v131 :: v_dual_fmac_f32 v37, 0xbf5db3d7, v9
	ds_store_2addr_b32 v103, v14, v10 offset0:108 offset1:198
	ds_store_2addr_b32 v104, v36, v37 offset0:24 offset1:114
	v_add_f32_e32 v9, v84, v55
	v_add_f32_e32 v10, v80, v130
	v_fmac_f32_e32 v80, -0.5, v8
	v_dual_sub_f32 v8, v132, v133 :: v_dual_add_f32 v11, v81, v84
	s_delay_alu instid0(VALU_DEP_4) | instskip(NEXT) | instid1(VALU_DEP_4)
	v_fmac_f32_e32 v81, -0.5, v9
	v_dual_sub_f32 v9, v113, v85 :: v_dual_add_f32 v84, v10, v131
	s_delay_alu instid0(VALU_DEP_3) | instskip(SKIP_4) | instid1(VALU_DEP_3)
	v_fmamk_f32 v85, v8, 0xbf5db3d7, v80
	v_fmac_f32_e32 v80, 0x3f5db3d7, v8
	v_add_f32_e32 v8, v57, v59
	v_dual_add_f32 v10, v82, v57 :: v_dual_add_f32 v55, v11, v55
	v_fmamk_f32 v113, v9, 0xbf5db3d7, v81
	v_dual_fmac_f32 v81, 0x3f5db3d7, v9 :: v_dual_fmac_f32 v82, -0.5, v8
	v_dual_sub_f32 v8, v54, v61 :: v_dual_add_f32 v9, v56, v63
	s_delay_alu instid0(VALU_DEP_4) | instskip(SKIP_1) | instid1(VALU_DEP_3)
	v_dual_add_f32 v11, v120, v56 :: v_dual_add_f32 v54, v10, v59
	v_add_f32_e32 v10, v72, v74
	v_fmamk_f32 v56, v8, 0xbf5db3d7, v82
	v_fmac_f32_e32 v82, 0x3f5db3d7, v8
	v_add_f32_e32 v8, v69, v70
	v_dual_fmac_f32 v120, -0.5, v9 :: v_dual_sub_f32 v9, v58, v60
	v_add_f32_e32 v57, v11, v63
	v_add_f32_e32 v11, v35, v69
	s_delay_alu instid0(VALU_DEP_4) | instskip(SKIP_4) | instid1(VALU_DEP_4)
	v_fmac_f32_e32 v35, -0.5, v8
	v_sub_f32_e32 v8, v53, v44
	v_dual_add_f32 v12, v33, v72 :: v_dual_fmac_f32 v33, -0.5, v10
	v_sub_f32_e32 v10, v71, v73
	v_dual_add_f32 v13, v47, v75 :: v_dual_fmamk_f32 v58, v9, 0xbf5db3d7, v120
	v_dual_fmac_f32 v120, 0x3f5db3d7, v9 :: v_dual_fmamk_f32 v9, v8, 0x3f5db3d7, v35
	v_fmac_f32_e32 v35, 0xbf5db3d7, v8
	s_delay_alu instid0(VALU_DEP_4)
	v_fmamk_f32 v8, v10, 0x3f5db3d7, v33
	v_dual_fmac_f32 v33, 0xbf5db3d7, v10 :: v_dual_add_f32 v10, v32, v47
	v_dual_fmac_f32 v32, -0.5, v13 :: v_dual_add_f32 v13, v77, v79
	v_add3_u32 v43, 0, v16, v17
	v_dual_add_f32 v11, v11, v70 :: v_dual_sub_f32 v14, v45, v0
	v_add_f32_e32 v12, v12, v74
	s_delay_alu instid0(VALU_DEP_4)
	v_dual_fmac_f32 v34, -0.5, v13 :: v_dual_sub_f32 v13, v76, v78
	v_lshl_add_u32 v59, v127, 2, 0
	ds_store_b32 v43, v11
	ds_store_b32 v43, v9 offset:1200
	ds_store_b32 v43, v35 offset:2400
	v_add_f32_e32 v9, v10, v75
	v_lshl_add_u32 v60, v128, 2, 0
	v_fmamk_f32 v18, v14, 0x3f5db3d7, v32
	v_fmac_f32_e32 v32, 0xbf5db3d7, v14
	v_fmamk_f32 v14, v13, 0x3f5db3d7, v34
	v_fmac_f32_e32 v34, 0xbf5db3d7, v13
	v_add_f32_e32 v10, v15, v79
	v_lshl_add_u32 v61, v129, 2, 0
	ds_store_b32 v59, v12 offset:7200
	ds_store_b32 v59, v8 offset:8400
	;; [unrolled: 1-line block ×9, first 2 shown]
	global_wb scope:SCOPE_SE
	s_wait_dscnt 0x0
	s_barrier_signal -1
	s_barrier_wait -1
	global_inv scope:SCOPE_SE
	ds_load_b32 v35, v117
	ds_load_b32 v39, v116
	;; [unrolled: 1-line block ×10, first 2 shown]
	ds_load_2addr_b32 v[24:25], v108 offset0:132 offset1:222
	ds_load_2addr_b32 v[26:27], v105 offset0:8 offset1:98
	ds_load_2addr_b32 v[8:9], v100 offset0:56 offset1:146
	ds_load_2addr_b32 v[10:11], v110 offset0:60 offset1:150
	ds_load_2addr_b32 v[12:13], v103 offset0:108 offset1:198
	ds_load_2addr_b32 v[14:15], v106 offset0:112 offset1:202
	ds_load_2addr_b32 v[16:17], v111 offset0:160 offset1:250
	ds_load_2addr_b32 v[18:19], v107 offset0:36 offset1:126
	ds_load_2addr_b32 v[20:21], v104 offset0:84 offset1:174
	ds_load_2addr_b32 v[22:23], v112 offset0:88 offset1:178
	global_wb scope:SCOPE_SE
	s_wait_dscnt 0x0
	s_barrier_signal -1
	s_barrier_wait -1
	global_inv scope:SCOPE_SE
	ds_store_b32 v97, v84
	ds_store_b32 v97, v85 offset:1200
	ds_store_b32 v97, v80 offset:2400
	ds_store_b32 v101, v55
	ds_store_b32 v101, v113 offset:1200
	ds_store_b32 v101, v81 offset:2400
	;; [unrolled: 3-line block ×3, first 2 shown]
	v_add_f32_e32 v54, v52, v46
	ds_store_b32 v42, v57
	ds_store_b32 v42, v58 offset:1200
	ds_store_b32 v42, v120 offset:2400
	v_add_f32_e32 v42, v64, v67
	v_add_f32_e32 v52, v83, v52
	;; [unrolled: 1-line block ×3, first 2 shown]
	v_dual_fmac_f32 v83, -0.5, v54 :: v_dual_sub_f32 v54, v62, v65
	s_delay_alu instid0(VALU_DEP_4) | instskip(SKIP_2) | instid1(VALU_DEP_4)
	v_fmac_f32_e32 v114, -0.5, v42
	v_sub_f32_e32 v42, v66, v68
	v_dual_add_f32 v46, v52, v46 :: v_dual_add_f32 v57, v118, v71
	v_fmamk_f32 v52, v54, 0xbf5db3d7, v83
	v_dual_fmac_f32 v83, 0x3f5db3d7, v54 :: v_dual_add_f32 v54, v55, v67
	s_delay_alu instid0(VALU_DEP_4) | instskip(SKIP_3) | instid1(VALU_DEP_4)
	v_dual_add_f32 v55, v53, v44 :: v_dual_fmamk_f32 v56, v42, 0xbf5db3d7, v114
	v_fmac_f32_e32 v114, 0x3f5db3d7, v42
	v_add_f32_e32 v42, v71, v73
	v_add_f32_e32 v53, v121, v53
	v_fmac_f32_e32 v121, -0.5, v55
	v_sub_f32_e32 v55, v69, v70
	s_delay_alu instid0(VALU_DEP_4) | instskip(SKIP_1) | instid1(VALU_DEP_3)
	v_dual_sub_f32 v47, v47, v75 :: v_dual_fmac_f32 v118, -0.5, v42
	v_sub_f32_e32 v42, v72, v74
	v_dual_add_f32 v44, v53, v44 :: v_dual_fmamk_f32 v53, v55, 0xbf5db3d7, v121
	v_fmac_f32_e32 v121, 0x3f5db3d7, v55
	v_add_f32_e32 v55, v57, v73
	s_delay_alu instid0(VALU_DEP_4) | instskip(SKIP_2) | instid1(VALU_DEP_3)
	v_dual_add_f32 v57, v45, v0 :: v_dual_fmamk_f32 v58, v42, 0xbf5db3d7, v118
	v_fmac_f32_e32 v118, 0x3f5db3d7, v42
	v_dual_add_f32 v42, v76, v78 :: v_dual_add_f32 v45, v119, v45
	v_fmac_f32_e32 v119, -0.5, v57
	s_delay_alu instid0(VALU_DEP_2) | instskip(SKIP_1) | instid1(VALU_DEP_3)
	v_dual_add_f32 v57, v122, v76 :: v_dual_fmac_f32 v122, -0.5, v42
	v_sub_f32_e32 v42, v77, v79
	v_dual_add_f32 v0, v45, v0 :: v_dual_fmamk_f32 v45, v47, 0xbf5db3d7, v119
	v_fmac_f32_e32 v119, 0x3f5db3d7, v47
	s_delay_alu instid0(VALU_DEP_4) | instskip(NEXT) | instid1(VALU_DEP_4)
	v_add_f32_e32 v47, v57, v78
	v_fmamk_f32 v57, v42, 0xbf5db3d7, v122
	v_fmac_f32_e32 v122, 0x3f5db3d7, v42
	ds_store_2addr_b32 v123, v46, v54 offset0:64 offset1:154
	ds_store_2addr_b32 v103, v52, v56 offset0:108 offset1:198
	;; [unrolled: 1-line block ×3, first 2 shown]
	ds_store_b32 v43, v44
	ds_store_b32 v43, v53 offset:1200
	ds_store_b32 v43, v121 offset:2400
	;; [unrolled: 1-line block ×11, first 2 shown]
	global_wb scope:SCOPE_SE
	s_wait_dscnt 0x0
	s_barrier_signal -1
	s_barrier_wait -1
	global_inv scope:SCOPE_SE
	s_and_saveexec_b32 s0, vcc_lo
	s_cbranch_execz .LBB0_15
; %bb.14:
	v_lshlrev_b32_e32 v0, 1, v93
	s_clause 0x1
	global_load_b128 v[42:45], v[4:5], off offset:7176
	global_load_b128 v[2:5], v[2:3], off offset:7176
	v_sub_nc_u32_e32 v93, 0, v102
	v_sub_nc_u32_e32 v113, 0, v99
	;; [unrolled: 1-line block ×3, first 2 shown]
	v_lshlrev_b64_e32 v[46:47], 3, v[0:1]
	v_lshlrev_b32_e32 v0, 1, v92
	v_mul_lo_u32 v115, s3, v50
	v_mul_lo_u32 v116, s2, v51
	global_load_b128 v[56:59], v[6:7], off offset:7176
	v_add_co_u32 v46, vcc_lo, s8, v46
	s_wait_alu 0xfffd
	v_add_co_ci_u32_e32 v47, vcc_lo, s9, v47, vcc_lo
	v_lshlrev_b64_e32 v[6:7], 3, v[0:1]
	v_lshlrev_b32_e32 v0, 1, v91
	global_load_b128 v[52:55], v[46:47], off offset:7176
	v_add_co_u32 v6, vcc_lo, s8, v6
	s_wait_alu 0xfffd
	v_add_co_ci_u32_e32 v7, vcc_lo, s9, v7, vcc_lo
	global_load_b128 v[60:63], v[6:7], off offset:7176
	v_lshlrev_b64_e32 v[6:7], 3, v[0:1]
	v_lshlrev_b32_e32 v0, 1, v90
	s_delay_alu instid0(VALU_DEP_2) | instskip(SKIP_1) | instid1(VALU_DEP_3)
	v_add_co_u32 v6, vcc_lo, s8, v6
	s_wait_alu 0xfffd
	v_add_co_ci_u32_e32 v7, vcc_lo, s9, v7, vcc_lo
	global_load_b128 v[64:67], v[6:7], off offset:7176
	v_lshlrev_b64_e32 v[6:7], 3, v[0:1]
	v_lshlrev_b32_e32 v0, 1, v89
	s_delay_alu instid0(VALU_DEP_2) | instskip(SKIP_1) | instid1(VALU_DEP_3)
	;; [unrolled: 7-line block ×3, first 2 shown]
	v_add_co_u32 v6, vcc_lo, s8, v6
	s_wait_alu 0xfffd
	v_add_co_ci_u32_e32 v7, vcc_lo, s9, v7, vcc_lo
	global_load_b128 v[72:75], v[6:7], off offset:7176
	v_lshlrev_b64_e32 v[6:7], 3, v[0:1]
	v_lshlrev_b32_e32 v0, 1, v87
	s_delay_alu instid0(VALU_DEP_1) | instskip(NEXT) | instid1(VALU_DEP_3)
	v_lshlrev_b64_e32 v[0:1], 3, v[0:1]
	v_add_co_u32 v6, vcc_lo, s8, v6
	s_wait_alu 0xfffd
	s_delay_alu instid0(VALU_DEP_4) | instskip(NEXT) | instid1(VALU_DEP_3)
	v_add_co_ci_u32_e32 v7, vcc_lo, s9, v7, vcc_lo
	v_add_co_u32 v0, vcc_lo, s8, v0
	global_load_b128 v[76:79], v[6:7], off offset:7176
	s_wait_alu 0xfffd
	v_add_co_ci_u32_e32 v1, vcc_lo, s9, v1, vcc_lo
	global_load_b128 v[80:83], v[0:1], off offset:7176
	v_mad_co_u64_u32 v[0:1], null, s2, v50, 0
	ds_load_2addr_b32 v[6:7], v104 offset0:84 offset1:174
	ds_load_2addr_b32 v[46:47], v112 offset0:88 offset1:178
	;; [unrolled: 1-line block ×10, first 2 shown]
	ds_load_b32 v112, v31
	ds_load_b32 v117, v30
	;; [unrolled: 1-line block ×7, first 2 shown]
	v_mul_hi_u32 v30, 0x91a2b3c5, v86
	v_add_nc_u32_e32 v31, 0x5a, v86
	v_lshlrev_b64_e32 v[28:29], 3, v[48:49]
	v_add_nc_u32_e32 v49, v95, v113
	v_add_nc_u32_e32 v48, v96, v114
	;; [unrolled: 1-line block ×3, first 2 shown]
	v_mul_hi_u32 v95, 0x91a2b3c5, v31
	ds_load_b32 v113, v48
	ds_load_b32 v114, v49
	v_lshrrev_b32_e32 v30, 9, v30
	v_mul_hi_u32 v96, 0x91a2b3c5, v100
	v_add3_u32 v1, v1, v116, v115
	v_add_nc_u32_e32 v93, v94, v93
	v_lshrrev_b32_e32 v48, 9, v95
	v_mul_u32_u24_e32 v30, 0x384, v30
	s_delay_alu instid0(VALU_DEP_4)
	v_lshlrev_b64_e32 v[0:1], 3, v[0:1]
	ds_load_b32 v115, v93
	v_lshrrev_b32_e32 v94, 9, v96
	v_sub_nc_u32_e32 v101, v86, v30
	v_mul_u32_u24_e32 v30, 0x384, v48
	v_add_co_u32 v93, vcc_lo, s6, v0
	s_delay_alu instid0(VALU_DEP_3) | instskip(NEXT) | instid1(VALU_DEP_3)
	v_add_nc_u32_e32 v108, 0x384, v101
	v_sub_nc_u32_e32 v96, v31, v30
	v_mul_u32_u24_e32 v49, 0x384, v94
	v_add_nc_u32_e32 v110, 0x708, v101
	s_wait_alu 0xfffd
	v_add_co_ci_u32_e32 v95, vcc_lo, s7, v1, vcc_lo
	v_mad_u32_u24 v116, 0xa8c, v48, v96
	v_mad_co_u64_u32 v[0:1], null, s16, v101, 0
	v_mad_co_u64_u32 v[30:31], null, s16, v108, 0
	v_sub_nc_u32_e32 v100, v100, v49
	v_mad_co_u64_u32 v[48:49], null, s16, v110, 0
	v_add_nc_u32_e32 v123, 0x384, v116
	v_add_co_u32 v28, vcc_lo, v93, v28
	s_delay_alu instid0(VALU_DEP_4) | instskip(SKIP_1) | instid1(VALU_DEP_4)
	v_mad_u32_u24 v122, 0xa8c, v94, v100
	v_mad_co_u64_u32 v[93:94], null, s16, v116, 0
	v_mad_co_u64_u32 v[106:107], null, s16, v123, 0
	s_wait_alu 0xfffd
	v_add_co_ci_u32_e32 v29, vcc_lo, v95, v29, vcc_lo
	v_mad_co_u64_u32 v[95:96], null, s16, v122, 0
	v_add_nc_u32_e32 v124, 0x708, v116
	s_wait_loadcnt 0x8
	v_mad_co_u64_u32 v[100:101], null, s17, v101, v[1:2]
	v_mov_b32_e32 v1, v31
	v_mov_b32_e32 v31, v49
	s_delay_alu instid0(VALU_DEP_2) | instskip(NEXT) | instid1(VALU_DEP_2)
	v_mad_co_u64_u32 v[108:109], null, s17, v108, v[1:2]
	v_mad_co_u64_u32 v[109:110], null, s17, v110, v[31:32]
	v_dual_mov_b32 v31, v94 :: v_dual_mov_b32 v94, v107
	v_mov_b32_e32 v1, v100
	s_delay_alu instid0(VALU_DEP_2) | instskip(SKIP_1) | instid1(VALU_DEP_4)
	v_mad_co_u64_u32 v[100:101], null, s17, v116, v[31:32]
	v_mov_b32_e32 v31, v108
	v_mad_co_u64_u32 v[107:108], null, s17, v123, v[94:95]
	s_wait_dscnt 0xb
	v_dual_mov_b32 v49, v109 :: v_dual_mul_f32 v108, v3, v102
	s_wait_dscnt 0xa
	s_delay_alu instid0(VALU_DEP_4)
	v_dual_mul_f32 v109, v5, v104 :: v_dual_mov_b32 v94, v100
	v_lshlrev_b64_e32 v[0:1], 3, v[0:1]
	v_lshlrev_b64_e32 v[30:31], 3, v[30:31]
	;; [unrolled: 1-line block ×3, first 2 shown]
	v_dual_mul_f32 v106, v43, v103 :: v_dual_mul_f32 v107, v45, v105
	v_mul_f32_e32 v105, v44, v105
	v_mul_f32_e32 v103, v42, v103
	;; [unrolled: 1-line block ×3, first 2 shown]
	s_delay_alu instid0(VALU_DEP_4)
	v_fma_f32 v42, v25, v42, -v106
	v_fma_f32 v106, v27, v44, -v107
	v_fmac_f32_e32 v105, v27, v45
	v_dual_fmac_f32 v103, v25, v43 :: v_dual_mul_f32 v104, v4, v104
	v_fma_f32 v2, v24, v2, -v108
	v_fma_f32 v4, v26, v4, -v109
	s_delay_alu instid0(VALU_DEP_3) | instskip(NEXT) | instid1(VALU_DEP_4)
	v_dual_fmac_f32 v102, v24, v3 :: v_dual_add_f32 v3, v103, v105
	v_dual_fmac_f32 v104, v26, v5 :: v_dual_add_f32 v27, v41, v42
	s_wait_dscnt 0x4
	v_add_f32_e32 v5, v103, v121
	v_add_f32_e32 v25, v42, v106
	v_dual_add_f32 v108, v2, v4 :: v_dual_add_f32 v109, v40, v2
	s_wait_dscnt 0x3
	v_add_f32_e32 v107, v102, v97
	v_add_co_u32 v0, vcc_lo, v28, v0
	s_wait_alu 0xfffd
	v_add_co_ci_u32_e32 v1, vcc_lo, v29, v1, vcc_lo
	v_dual_sub_f32 v26, v103, v105 :: v_dual_sub_f32 v45, v2, v4
	v_dual_add_f32 v103, v102, v104 :: v_dual_add_f32 v44, v105, v5
	v_fma_f32 v41, -0.5, v25, v41
	v_add_f32_e32 v4, v109, v4
	v_dual_sub_f32 v24, v42, v106 :: v_dual_add_f32 v5, v104, v107
	v_lshlrev_b64_e32 v[48:49], 3, v[48:49]
	v_dual_sub_f32 v102, v102, v104 :: v_dual_add_f32 v43, v27, v106
	v_fma_f32 v42, -0.5, v3, v121
	v_fma_f32 v3, -0.5, v103, v97
	;; [unrolled: 1-line block ×3, first 2 shown]
	s_wait_loadcnt 0x6
	v_dual_mul_f32 v27, v53, v7 :: v_dual_mul_f32 v104, v59, v98
	v_dual_mul_f32 v40, v55, v47 :: v_dual_mul_f32 v105, v58, v98
	v_mul_f32_e32 v7, v52, v7
	v_dual_mul_f32 v47, v54, v47 :: v_dual_fmamk_f32 v98, v24, 0x3f5db3d7, v42
	v_mul_f32_e32 v103, v57, v91
	v_fmamk_f32 v97, v26, 0xbf5db3d7, v41
	global_store_b64 v[0:1], v[4:5], off
	s_wait_loadcnt 0x5
	v_mul_f32_e32 v1, v61, v6
	v_mul_f32_e32 v6, v60, v6
	v_add_co_u32 v30, vcc_lo, v28, v30
	s_wait_alu 0xfffd
	v_add_co_ci_u32_e32 v31, vcc_lo, v29, v31, vcc_lo
	v_add_co_u32 v48, vcc_lo, v28, v48
	v_dual_mul_f32 v91, v56, v91 :: v_dual_fmac_f32 v42, 0xbf5db3d7, v24
	v_fmamk_f32 v24, v102, 0xbf5db3d7, v2
	v_fmac_f32_e32 v2, 0x3f5db3d7, v102
	v_fma_f32 v0, v21, v52, -v27
	v_fma_f32 v4, v23, v54, -v40
	v_fmac_f32_e32 v41, 0x3f5db3d7, v26
	v_fmac_f32_e32 v7, v21, v53
	v_dual_fmac_f32 v47, v23, v55 :: v_dual_fmac_f32 v6, v20, v61
	v_fmamk_f32 v25, v45, 0x3f5db3d7, v3
	v_fmac_f32_e32 v3, 0xbf5db3d7, v45
	v_fma_f32 v23, v8, v56, -v103
	v_fma_f32 v26, v10, v58, -v104
	s_wait_alu 0xfffd
	v_add_co_ci_u32_e32 v49, vcc_lo, v29, v49, vcc_lo
	v_mul_f32_e32 v5, v63, v46
	v_fmac_f32_e32 v91, v8, v57
	v_dual_fmac_f32 v105, v10, v59 :: v_dual_add_f32 v10, v0, v4
	s_clause 0x1
	global_store_b64 v[30:31], v[2:3], off
	global_store_b64 v[48:49], v[24:25], off
	v_add_f32_e32 v48, v23, v26
	v_mul_f32_e32 v21, v62, v46
	v_fma_f32 v27, v22, v62, -v5
	v_add_f32_e32 v46, v91, v120
	v_add_f32_e32 v30, v91, v105
	s_delay_alu instid0(VALU_DEP_4)
	v_dual_sub_f32 v8, v0, v4 :: v_dual_fmac_f32 v21, v22, v63
	s_wait_loadcnt 0x4
	v_mul_f32_e32 v22, v64, v51
	v_add_f32_e32 v24, v39, v0
	v_add_f32_e32 v2, v7, v47
	s_wait_dscnt 0x2
	v_add_f32_e32 v3, v7, v113
	v_dual_sub_f32 v7, v7, v47 :: v_dual_mul_f32 v40, v66, v85
	v_fma_f32 v25, v20, v60, -v1
	v_mul_f32_e32 v20, v67, v85
	v_fma_f32 v0, -0.5, v10, v39
	v_fmac_f32_e32 v22, v17, v65
	v_mul_f32_e32 v5, v65, v51
	v_dual_sub_f32 v45, v23, v26 :: v_dual_sub_f32 v10, v25, v27
	v_sub_f32_e32 v49, v91, v105
	v_add_f32_e32 v23, v38, v23
	v_fma_f32 v1, -0.5, v2, v113
	v_add_f32_e32 v2, v24, v4
	v_fmamk_f32 v4, v7, 0xbf5db3d7, v0
	v_dual_add_f32 v3, v47, v3 :: v_dual_sub_f32 v52, v6, v21
	v_add_f32_e32 v24, v6, v21
	v_dual_add_f32 v47, v6, v112 :: v_dual_fmac_f32 v40, v19, v67
	s_wait_loadcnt 0x3
	v_dual_add_f32 v51, v25, v27 :: v_dual_mul_f32 v56, v70, v84
	v_add_f32_e32 v25, v37, v25
	v_fma_f32 v53, v17, v64, -v5
	v_fma_f32 v54, v19, v66, -v20
	v_dual_mul_f32 v17, v69, v50 :: v_dual_fmac_f32 v0, 0x3f5db3d7, v7
	v_dual_mul_f32 v55, v71, v84 :: v_dual_add_f32 v20, v21, v47
	v_mul_f32_e32 v50, v68, v50
	v_fma_f32 v31, -0.5, v30, v120
	v_add_f32_e32 v39, v105, v46
	v_fma_f32 v30, -0.5, v48, v38
	v_add_f32_e32 v38, v23, v26
	v_add_f32_e32 v26, v36, v53
	v_fmamk_f32 v5, v8, 0x3f5db3d7, v1
	v_dual_fmac_f32 v1, 0xbf5db3d7, v8 :: v_dual_fmac_f32 v50, v16, v69
	v_fma_f32 v7, -0.5, v24, v112
	v_fma_f32 v6, -0.5, v51, v37
	s_wait_loadcnt 0x2
	v_dual_add_f32 v19, v25, v27 :: v_dual_mul_f32 v48, v75, v90
	v_dual_add_f32 v21, v22, v40 :: v_dual_fmamk_f32 v46, v45, 0x3f5db3d7, v31
	v_add_f32_e32 v23, v22, v117
	v_dual_add_f32 v25, v53, v54 :: v_dual_fmac_f32 v56, v18, v71
	v_fma_f32 v37, v16, v68, -v17
	v_fma_f32 v47, v18, v70, -v55
	v_dual_mul_f32 v51, v72, v88 :: v_dual_sub_f32 v8, v53, v54
	v_sub_f32_e32 v27, v22, v40
	v_dual_mul_f32 v18, v73, v88 :: v_dual_mul_f32 v53, v74, v90
	v_dual_fmamk_f32 v16, v52, 0xbf5db3d7, v6 :: v_dual_fmac_f32 v31, 0xbf5db3d7, v45
	v_dual_add_f32 v24, v40, v23 :: v_dual_fmamk_f32 v45, v49, 0xbf5db3d7, v30
	v_dual_fmac_f32 v30, 0x3f5db3d7, v49 :: v_dual_fmamk_f32 v17, v10, 0x3f5db3d7, v7
	v_fmac_f32_e32 v6, 0x3f5db3d7, v52
	v_fmac_f32_e32 v7, 0xbf5db3d7, v10
	v_fma_f32 v22, -0.5, v21, v117
	v_fma_f32 v21, -0.5, v25, v36
	s_wait_loadcnt 0x1
	v_dual_add_f32 v23, v26, v54 :: v_dual_mul_f32 v54, v76, v87
	v_sub_f32_e32 v10, v37, v47
	v_add_f32_e32 v36, v50, v56
	s_wait_dscnt 0x1
	v_dual_add_f32 v40, v50, v114 :: v_dual_add_f32 v49, v37, v47
	v_dual_add_f32 v37, v35, v37 :: v_dual_fmamk_f32 v26, v8, 0x3f5db3d7, v22
	v_dual_fmac_f32 v51, v13, v73 :: v_dual_fmac_f32 v22, 0xbf5db3d7, v8
	s_wait_loadcnt 0x0
	v_dual_mul_f32 v55, v78, v89 :: v_dual_mul_f32 v58, v81, v92
	v_sub_f32_e32 v50, v50, v56
	v_fma_f32 v18, v13, v72, -v18
	v_fma_f32 v52, v15, v74, -v48
	v_dual_fmac_f32 v53, v15, v75 :: v_dual_add_f32 v48, v56, v40
	v_mul_f32_e32 v13, v77, v87
	s_delay_alu instid0(VALU_DEP_3)
	v_dual_mul_f32 v15, v79, v89 :: v_dual_add_f32 v40, v18, v52
	v_fmamk_f32 v25, v27, 0xbf5db3d7, v21
	v_dual_fmac_f32 v21, 0x3f5db3d7, v27 :: v_dual_fmac_f32 v54, v12, v77
	v_fma_f32 v36, -0.5, v36, v114
	v_fma_f32 v35, -0.5, v49, v35
	v_dual_add_f32 v47, v37, v47 :: v_dual_mul_f32 v60, v80, v92
	v_add_f32_e32 v37, v51, v118
	v_fmac_f32_e32 v55, v14, v79
	v_dual_sub_f32 v8, v18, v52 :: v_dual_add_f32 v27, v51, v53
	v_add_f32_e32 v18, v34, v18
	v_fma_f32 v56, v12, v76, -v13
	v_fma_f32 v57, v14, v78, -v15
	v_mul_f32_e32 v59, v83, v99
	v_mul_f32_e32 v61, v82, v99
	v_fmamk_f32 v12, v50, 0xbf5db3d7, v35
	v_dual_fmac_f32 v35, 0x3f5db3d7, v50 :: v_dual_add_f32 v50, v53, v37
	v_sub_f32_e32 v51, v51, v53
	v_fmamk_f32 v13, v10, 0x3f5db3d7, v36
	v_fmac_f32_e32 v36, 0xbf5db3d7, v10
	v_add_f32_e32 v10, v54, v55
	v_mad_co_u64_u32 v[110:111], null, s16, v124, 0
	v_fma_f32 v15, -0.5, v27, v118
	v_fma_f32 v14, -0.5, v40, v34
	v_dual_add_f32 v49, v18, v52 :: v_dual_fmac_f32 v60, v9, v81
	v_dual_sub_f32 v18, v56, v57 :: v_dual_add_f32 v27, v54, v119
	v_dual_add_f32 v37, v56, v57 :: v_dual_add_f32 v52, v33, v56
	v_fma_f32 v53, v9, v80, -v58
	v_fma_f32 v58, v11, v82, -v59
	v_fmac_f32_e32 v61, v11, v83
	v_fma_f32 v11, -0.5, v10, v119
	v_dual_sub_f32 v40, v54, v55 :: v_dual_fmamk_f32 v9, v8, 0x3f5db3d7, v15
	v_dual_fmac_f32 v15, 0xbf5db3d7, v8 :: v_dual_fmamk_f32 v8, v51, 0xbf5db3d7, v14
	v_fmac_f32_e32 v14, 0x3f5db3d7, v51
	v_add_f32_e32 v34, v55, v27
	v_fma_f32 v10, -0.5, v37, v33
	v_dual_add_f32 v33, v52, v57 :: v_dual_fmamk_f32 v52, v18, 0x3f5db3d7, v11
	v_sub_f32_e32 v27, v53, v58
	s_wait_dscnt 0x0
	v_dual_add_f32 v55, v60, v115 :: v_dual_add_f32 v56, v53, v58
	v_dual_fmac_f32 v11, 0xbf5db3d7, v18 :: v_dual_mov_b32 v18, v111
	v_add_f32_e32 v37, v60, v61
	v_lshlrev_b64_e32 v[93:94], 3, v[93:94]
	v_add_f32_e32 v57, v32, v53
	v_fma_f32 v53, -0.5, v56, v32
	v_add_nc_u32_e32 v32, 0x10e, v86
	v_fma_f32 v54, -0.5, v37, v115
	v_dual_sub_f32 v59, v60, v61 :: v_dual_add_f32 v56, v61, v55
	v_mad_co_u64_u32 v[61:62], null, s17, v124, v[18:19]
	v_mov_b32_e32 v18, v96
	v_mul_hi_u32 v37, 0x91a2b3c5, v32
	s_delay_alu instid0(VALU_DEP_2)
	v_mad_co_u64_u32 v[64:65], null, s17, v122, v[18:19]
	v_dual_add_f32 v55, v57, v58 :: v_dual_fmamk_f32 v58, v27, 0x3f5db3d7, v54
	v_fmac_f32_e32 v54, 0xbf5db3d7, v27
	v_add_nc_u32_e32 v27, 0x384, v122
	v_fmamk_f32 v57, v59, 0xbf5db3d7, v53
	v_fmac_f32_e32 v53, 0x3f5db3d7, v59
	v_add_co_u32 v59, vcc_lo, v28, v93
	s_wait_alu 0xfffd
	v_add_co_ci_u32_e32 v60, vcc_lo, v29, v94, vcc_lo
	v_add_co_u32 v62, vcc_lo, v28, v100
	v_mad_co_u64_u32 v[65:66], null, s16, v27, 0
	s_wait_alu 0xfffd
	v_add_co_ci_u32_e32 v63, vcc_lo, v29, v101, vcc_lo
	v_lshrrev_b32_e32 v37, 9, v37
	global_store_b64 v[59:60], v[43:44], off
	v_mov_b32_e32 v111, v61
	global_store_b64 v[62:63], v[41:42], off
	v_dual_mov_b32 v18, v66 :: v_dual_add_nc_u32 v63, 0x708, v122
	v_mul_u32_u24_e32 v44, 0x384, v37
	v_mov_b32_e32 v96, v64
	s_delay_alu instid0(VALU_DEP_3)
	v_mad_co_u64_u32 v[42:43], null, s16, v63, 0
	v_fmamk_f32 v51, v40, 0xbf5db3d7, v10
	v_fmac_f32_e32 v10, 0x3f5db3d7, v40
	v_mad_co_u64_u32 v[61:62], null, s17, v27, v[18:19]
	v_sub_nc_u32_e32 v27, v32, v44
	v_add_nc_u32_e32 v32, 0x168, v86
	v_mov_b32_e32 v18, v43
	v_lshlrev_b64_e32 v[40:41], 3, v[110:111]
	v_lshlrev_b64_e32 v[59:60], 3, v[95:96]
	v_mad_u32_u24 v27, 0xa8c, v37, v27
	v_mov_b32_e32 v66, v61
	s_delay_alu instid0(VALU_DEP_4)
	v_add_co_u32 v40, vcc_lo, v28, v40
	s_wait_alu 0xfffd
	v_add_co_ci_u32_e32 v41, vcc_lo, v29, v41, vcc_lo
	v_add_co_u32 v43, vcc_lo, v28, v59
	s_wait_alu 0xfffd
	v_add_co_ci_u32_e32 v44, vcc_lo, v29, v60, vcc_lo
	v_mad_co_u64_u32 v[59:60], null, s17, v63, v[18:19]
	v_mad_co_u64_u32 v[60:61], null, s16, v27, 0
	global_store_b64 v[40:41], v[97:98], off
	v_add_nc_u32_e32 v62, 0x384, v27
	v_mul_hi_u32 v41, 0x91a2b3c5, v32
	global_store_b64 v[43:44], v[38:39], off
	v_mov_b32_e32 v43, v59
	v_lshlrev_b64_e32 v[37:38], 3, v[65:66]
	v_mad_co_u64_u32 v[39:40], null, s16, v62, 0
	v_mov_b32_e32 v18, v61
	v_lshrrev_b32_e32 v59, 9, v41
	v_lshlrev_b64_e32 v[41:42], 3, v[42:43]
	v_add_co_u32 v37, vcc_lo, v28, v37
	s_delay_alu instid0(VALU_DEP_4)
	v_mad_co_u64_u32 v[43:44], null, s17, v27, v[18:19]
	v_mov_b32_e32 v18, v40
	v_mul_u32_u24_e32 v44, 0x384, v59
	s_wait_alu 0xfffd
	v_add_co_ci_u32_e32 v38, vcc_lo, v29, v38, vcc_lo
	v_add_co_u32 v40, vcc_lo, v28, v41
	v_mad_co_u64_u32 v[62:63], null, s17, v62, v[18:19]
	v_sub_nc_u32_e32 v18, v32, v44
	s_wait_alu 0xfffd
	v_add_co_ci_u32_e32 v41, vcc_lo, v29, v42, vcc_lo
	v_dual_mov_b32 v61, v43 :: v_dual_add_nc_u32 v32, 0x708, v27
	s_clause 0x1
	global_store_b64 v[37:38], v[30:31], off
	global_store_b64 v[40:41], v[45:46], off
	v_mad_u32_u24 v46, 0xa8c, v59, v18
	v_mov_b32_e32 v40, v62
	v_lshlrev_b64_e32 v[30:31], 3, v[60:61]
	v_mad_co_u64_u32 v[37:38], null, s16, v32, 0
	s_delay_alu instid0(VALU_DEP_4) | instskip(SKIP_1) | instid1(VALU_DEP_4)
	v_mad_co_u64_u32 v[41:42], null, s16, v46, 0
	v_add_nc_u32_e32 v59, 0x1c2, v86
	v_add_co_u32 v30, vcc_lo, v28, v30
	s_wait_alu 0xfffd
	v_add_co_ci_u32_e32 v31, vcc_lo, v29, v31, vcc_lo
	v_mov_b32_e32 v18, v38
	v_mul_hi_u32 v45, 0x91a2b3c5, v59
	v_mov_b32_e32 v27, v42
	v_lshlrev_b64_e32 v[38:39], 3, v[39:40]
	global_store_b64 v[30:31], v[55:56], off
	v_mad_co_u64_u32 v[42:43], null, s17, v32, v[18:19]
	v_mad_co_u64_u32 v[43:44], null, s17, v46, v[27:28]
	v_add_nc_u32_e32 v27, 0x384, v46
	v_lshrrev_b32_e32 v32, 9, v45
	v_add_co_u32 v44, vcc_lo, v28, v38
	s_wait_alu 0xfffd
	v_add_co_ci_u32_e32 v45, vcc_lo, v29, v39, vcc_lo
	s_delay_alu instid0(VALU_DEP_3) | instskip(SKIP_3) | instid1(VALU_DEP_4)
	v_mul_u32_u24_e32 v18, 0x384, v32
	v_mov_b32_e32 v38, v42
	v_mov_b32_e32 v42, v43
	v_mad_co_u64_u32 v[39:40], null, s16, v27, 0
	v_sub_nc_u32_e32 v43, v59, v18
	global_store_b64 v[44:45], v[53:54], off
	v_add_nc_u32_e32 v45, 0x708, v46
	v_lshlrev_b64_e32 v[30:31], 3, v[37:38]
	v_lshlrev_b64_e32 v[37:38], 3, v[41:42]
	v_mad_u32_u24 v32, 0xa8c, v32, v43
	v_mov_b32_e32 v18, v40
	s_delay_alu instid0(VALU_DEP_4) | instskip(NEXT) | instid1(VALU_DEP_2)
	v_add_co_u32 v30, vcc_lo, v28, v30
	v_mad_co_u64_u32 v[40:41], null, s17, v27, v[18:19]
	v_mad_co_u64_u32 v[41:42], null, s16, v45, 0
	;; [unrolled: 1-line block ×3, first 2 shown]
	s_wait_alu 0xfffd
	v_add_co_ci_u32_e32 v31, vcc_lo, v29, v31, vcc_lo
	v_add_co_u32 v37, vcc_lo, v28, v37
	s_delay_alu instid0(VALU_DEP_4)
	v_mov_b32_e32 v18, v42
	s_wait_alu 0xfffd
	v_add_co_ci_u32_e32 v38, vcc_lo, v29, v38, vcc_lo
	v_mov_b32_e32 v27, v44
	v_lshlrev_b64_e32 v[39:40], 3, v[39:40]
	v_mad_co_u64_u32 v[44:45], null, s17, v45, v[18:19]
	global_store_b64 v[30:31], v[57:58], off
	v_mad_co_u64_u32 v[45:46], null, s17, v32, v[27:28]
	v_add_nc_u32_e32 v46, 0x21c, v86
	v_add_nc_u32_e32 v27, 0x384, v32
	global_store_b64 v[37:38], v[33:34], off
	v_mov_b32_e32 v42, v44
	v_add_co_u32 v39, vcc_lo, v28, v39
	v_mul_hi_u32 v18, 0x91a2b3c5, v46
	v_mad_co_u64_u32 v[53:54], null, s16, v27, 0
	s_wait_alu 0xfffd
	v_add_co_ci_u32_e32 v40, vcc_lo, v29, v40, vcc_lo
	v_mov_b32_e32 v44, v45
	s_delay_alu instid0(VALU_DEP_4) | instskip(NEXT) | instid1(VALU_DEP_4)
	v_lshrrev_b32_e32 v37, 9, v18
	v_mov_b32_e32 v18, v54
	global_store_b64 v[39:40], v[10:11], off
	v_lshlrev_b64_e32 v[10:11], 3, v[41:42]
	v_add_nc_u32_e32 v41, 0x708, v32
	v_mul_u32_u24_e32 v38, 0x384, v37
	v_mad_co_u64_u32 v[32:33], null, s17, v27, v[18:19]
	v_lshlrev_b64_e32 v[30:31], 3, v[43:44]
	s_delay_alu instid0(VALU_DEP_4) | instskip(NEXT) | instid1(VALU_DEP_4)
	v_mad_co_u64_u32 v[33:34], null, s16, v41, 0
	v_sub_nc_u32_e32 v18, v46, v38
	v_add_nc_u32_e32 v46, 0x276, v86
	v_add_co_u32 v10, vcc_lo, v28, v10
	v_mov_b32_e32 v54, v32
	s_delay_alu instid0(VALU_DEP_4)
	v_mad_u32_u24 v27, 0xa8c, v37, v18
	v_mov_b32_e32 v18, v34
	s_wait_alu 0xfffd
	v_add_co_ci_u32_e32 v11, vcc_lo, v29, v11, vcc_lo
	v_lshlrev_b64_e32 v[37:38], 3, v[53:54]
	v_mad_co_u64_u32 v[39:40], null, s16, v27, 0
	v_add_nc_u32_e32 v32, 0x384, v27
	v_mad_co_u64_u32 v[41:42], null, s17, v41, v[18:19]
	v_add_co_u32 v30, vcc_lo, v28, v30
	s_delay_alu instid0(VALU_DEP_3)
	v_mad_co_u64_u32 v[42:43], null, s16, v32, 0
	v_mov_b32_e32 v18, v40
	v_mul_hi_u32 v40, 0x91a2b3c5, v46
	s_wait_alu 0xfffd
	v_add_co_ci_u32_e32 v31, vcc_lo, v29, v31, vcc_lo
	v_add_co_u32 v37, vcc_lo, v28, v37
	v_mad_co_u64_u32 v[44:45], null, s17, v27, v[18:19]
	v_mov_b32_e32 v34, v41
	v_lshrrev_b32_e32 v18, 9, v40
	s_wait_alu 0xfffd
	v_add_co_ci_u32_e32 v38, vcc_lo, v29, v38, vcc_lo
	s_clause 0x2
	global_store_b64 v[10:11], v[51:52], off
	global_store_b64 v[30:31], v[49:50], off
	global_store_b64 v[37:38], v[14:15], off
	v_mov_b32_e32 v14, v43
	v_lshlrev_b64_e32 v[10:11], 3, v[33:34]
	v_add_nc_u32_e32 v27, 0x708, v27
	v_mul_u32_u24_e32 v33, 0x384, v18
	v_mov_b32_e32 v40, v44
	v_mad_co_u64_u32 v[14:15], null, s17, v32, v[14:15]
	s_delay_alu instid0(VALU_DEP_4) | instskip(NEXT) | instid1(VALU_DEP_4)
	v_mad_co_u64_u32 v[30:31], null, s16, v27, 0
	v_sub_nc_u32_e32 v15, v46, v33
	v_add_nc_u32_e32 v34, 0x2d0, v86
	v_lshlrev_b64_e32 v[32:33], 3, v[39:40]
	v_add_co_u32 v10, vcc_lo, v28, v10
	s_delay_alu instid0(VALU_DEP_4) | instskip(SKIP_3) | instid1(VALU_DEP_3)
	v_mad_u32_u24 v18, 0xa8c, v18, v15
	v_dual_mov_b32 v43, v14 :: v_dual_mov_b32 v14, v31
	s_wait_alu 0xfffd
	v_add_co_ci_u32_e32 v11, vcc_lo, v29, v11, vcc_lo
	v_mad_co_u64_u32 v[37:38], null, s16, v18, 0
	s_delay_alu instid0(VALU_DEP_3)
	v_lshlrev_b64_e32 v[39:40], 3, v[42:43]
	v_mad_co_u64_u32 v[14:15], null, s17, v27, v[14:15]
	v_mul_hi_u32 v27, 0x91a2b3c5, v34
	v_add_co_u32 v32, vcc_lo, v28, v32
	s_wait_alu 0xfffd
	v_add_co_ci_u32_e32 v33, vcc_lo, v29, v33, vcc_lo
	v_mov_b32_e32 v15, v38
	v_add_co_u32 v38, vcc_lo, v28, v39
	s_wait_alu 0xfffd
	v_add_co_ci_u32_e32 v39, vcc_lo, v29, v40, vcc_lo
	v_mov_b32_e32 v31, v14
	v_lshrrev_b32_e32 v27, 9, v27
	s_clause 0x2
	global_store_b64 v[10:11], v[8:9], off
	global_store_b64 v[32:33], v[47:48], off
	;; [unrolled: 1-line block ×3, first 2 shown]
	v_add_nc_u32_e32 v32, 0x384, v18
	v_mad_co_u64_u32 v[40:41], null, s17, v18, v[15:16]
	v_lshlrev_b64_e32 v[8:9], 3, v[30:31]
	v_mul_u32_u24_e32 v30, 0x384, v27
	v_add_nc_u32_e32 v18, 0x708, v18
	v_mad_co_u64_u32 v[10:11], null, s16, v32, 0
	s_delay_alu instid0(VALU_DEP_3) | instskip(NEXT) | instid1(VALU_DEP_3)
	v_sub_nc_u32_e32 v33, v34, v30
	v_mad_co_u64_u32 v[14:15], null, s16, v18, 0
	v_add_co_u32 v8, vcc_lo, v28, v8
	s_delay_alu instid0(VALU_DEP_3)
	v_mad_u32_u24 v27, 0xa8c, v27, v33
	v_mad_co_u64_u32 v[32:33], null, s17, v32, v[11:12]
	s_wait_alu 0xfffd
	v_add_co_ci_u32_e32 v9, vcc_lo, v29, v9, vcc_lo
	v_mad_co_u64_u32 v[33:34], null, s17, v18, v[15:16]
	v_mad_co_u64_u32 v[34:35], null, s16, v27, 0
	s_delay_alu instid0(VALU_DEP_4)
	v_dual_mov_b32 v11, v32 :: v_dual_add_nc_u32 v18, 0x32a, v86
	v_mov_b32_e32 v38, v40
	global_store_b64 v[8:9], v[12:13], off
	v_mov_b32_e32 v15, v33
	v_mul_hi_u32 v32, 0x91a2b3c5, v18
	v_lshlrev_b64_e32 v[9:10], 3, v[10:11]
	v_mov_b32_e32 v8, v35
	v_lshlrev_b64_e32 v[30:31], 3, v[37:38]
	v_lshlrev_b64_e32 v[11:12], 3, v[14:15]
	s_delay_alu instid0(VALU_DEP_3) | instskip(SKIP_1) | instid1(VALU_DEP_4)
	v_mad_co_u64_u32 v[13:14], null, s17, v27, v[8:9]
	v_lshrrev_b32_e32 v14, 9, v32
	v_add_co_u32 v30, vcc_lo, v28, v30
	s_wait_alu 0xfffd
	v_add_co_ci_u32_e32 v31, vcc_lo, v29, v31, vcc_lo
	v_add_co_u32 v8, vcc_lo, v28, v9
	v_mul_u32_u24_e32 v15, 0x384, v14
	s_wait_alu 0xfffd
	v_add_co_ci_u32_e32 v9, vcc_lo, v29, v10, vcc_lo
	v_add_co_u32 v10, vcc_lo, v28, v11
	s_wait_alu 0xfffd
	v_add_co_ci_u32_e32 v11, vcc_lo, v29, v12, vcc_lo
	v_sub_nc_u32_e32 v15, v18, v15
	global_store_b64 v[30:31], v[23:24], off
	v_add_nc_u32_e32 v23, 0x384, v27
	s_clause 0x1
	global_store_b64 v[8:9], v[21:22], off
	global_store_b64 v[10:11], v[25:26], off
	v_mad_u32_u24 v25, 0xa8c, v14, v15
	v_dual_mov_b32 v35, v13 :: v_dual_add_nc_u32 v18, 0x708, v27
	v_mad_co_u64_u32 v[12:13], null, s16, v23, 0
	s_delay_alu instid0(VALU_DEP_3) | instskip(NEXT) | instid1(VALU_DEP_3)
	v_mad_co_u64_u32 v[14:15], null, s16, v25, 0
	v_mad_co_u64_u32 v[10:11], null, s16, v18, 0
	s_delay_alu instid0(VALU_DEP_4) | instskip(SKIP_1) | instid1(VALU_DEP_4)
	v_lshlrev_b64_e32 v[8:9], 3, v[34:35]
	v_add_nc_u32_e32 v30, 0x384, v25
	v_mad_co_u64_u32 v[21:22], null, s17, v23, v[13:14]
	s_delay_alu instid0(VALU_DEP_4) | instskip(SKIP_1) | instid1(VALU_DEP_4)
	v_mad_co_u64_u32 v[22:23], null, s17, v18, v[11:12]
	v_mov_b32_e32 v11, v15
	v_mad_co_u64_u32 v[23:24], null, s16, v30, 0
	v_add_co_u32 v8, vcc_lo, v28, v8
	v_add_nc_u32_e32 v18, 0x708, v25
	s_wait_alu 0xfffd
	v_add_co_ci_u32_e32 v9, vcc_lo, v29, v9, vcc_lo
	v_mad_co_u64_u32 v[25:26], null, s17, v25, v[11:12]
	s_delay_alu instid0(VALU_DEP_3) | instskip(SKIP_4) | instid1(VALU_DEP_3)
	v_mad_co_u64_u32 v[26:27], null, s16, v18, 0
	global_store_b64 v[8:9], v[19:20], off
	v_dual_mov_b32 v8, v24 :: v_dual_mov_b32 v11, v22
	v_mov_b32_e32 v13, v21
	v_mov_b32_e32 v15, v25
	v_mad_co_u64_u32 v[8:9], null, s17, v30, v[8:9]
	s_delay_alu instid0(VALU_DEP_4) | instskip(SKIP_3) | instid1(VALU_DEP_3)
	v_lshlrev_b64_e32 v[10:11], 3, v[10:11]
	v_mov_b32_e32 v9, v27
	v_lshlrev_b64_e32 v[12:13], 3, v[12:13]
	v_lshlrev_b64_e32 v[14:15], 3, v[14:15]
	v_mad_co_u64_u32 v[18:19], null, s17, v18, v[9:10]
	s_delay_alu instid0(VALU_DEP_3)
	v_add_co_u32 v12, vcc_lo, v28, v12
	v_mov_b32_e32 v24, v8
	s_wait_alu 0xfffd
	v_add_co_ci_u32_e32 v13, vcc_lo, v29, v13, vcc_lo
	v_add_co_u32 v8, vcc_lo, v28, v10
	v_mov_b32_e32 v27, v18
	s_wait_alu 0xfffd
	v_add_co_ci_u32_e32 v9, vcc_lo, v29, v11, vcc_lo
	v_lshlrev_b64_e32 v[10:11], 3, v[23:24]
	v_add_co_u32 v14, vcc_lo, v28, v14
	v_lshlrev_b64_e32 v[18:19], 3, v[26:27]
	s_wait_alu 0xfffd
	v_add_co_ci_u32_e32 v15, vcc_lo, v29, v15, vcc_lo
	s_delay_alu instid0(VALU_DEP_4)
	v_add_co_u32 v10, vcc_lo, v28, v10
	s_wait_alu 0xfffd
	v_add_co_ci_u32_e32 v11, vcc_lo, v29, v11, vcc_lo
	v_add_co_u32 v18, vcc_lo, v28, v18
	s_wait_alu 0xfffd
	v_add_co_ci_u32_e32 v19, vcc_lo, v29, v19, vcc_lo
	s_clause 0x4
	global_store_b64 v[12:13], v[6:7], off
	global_store_b64 v[8:9], v[16:17], off
	;; [unrolled: 1-line block ×5, first 2 shown]
.LBB0_15:
	s_nop 0
	s_sendmsg sendmsg(MSG_DEALLOC_VGPRS)
	s_endpgm
	.section	.rodata,"a",@progbits
	.p2align	6, 0x0
	.amdhsa_kernel fft_rtc_fwd_len2700_factors_3_10_10_3_3_wgs_90_tpt_90_halfLds_sp_op_CI_CI_sbrr_dirReg
		.amdhsa_group_segment_fixed_size 0
		.amdhsa_private_segment_fixed_size 0
		.amdhsa_kernarg_size 104
		.amdhsa_user_sgpr_count 2
		.amdhsa_user_sgpr_dispatch_ptr 0
		.amdhsa_user_sgpr_queue_ptr 0
		.amdhsa_user_sgpr_kernarg_segment_ptr 1
		.amdhsa_user_sgpr_dispatch_id 0
		.amdhsa_user_sgpr_private_segment_size 0
		.amdhsa_wavefront_size32 1
		.amdhsa_uses_dynamic_stack 0
		.amdhsa_enable_private_segment 0
		.amdhsa_system_sgpr_workgroup_id_x 1
		.amdhsa_system_sgpr_workgroup_id_y 0
		.amdhsa_system_sgpr_workgroup_id_z 0
		.amdhsa_system_sgpr_workgroup_info 0
		.amdhsa_system_vgpr_workitem_id 0
		.amdhsa_next_free_vgpr 147
		.amdhsa_next_free_sgpr 43
		.amdhsa_reserve_vcc 1
		.amdhsa_float_round_mode_32 0
		.amdhsa_float_round_mode_16_64 0
		.amdhsa_float_denorm_mode_32 3
		.amdhsa_float_denorm_mode_16_64 3
		.amdhsa_fp16_overflow 0
		.amdhsa_workgroup_processor_mode 1
		.amdhsa_memory_ordered 1
		.amdhsa_forward_progress 0
		.amdhsa_round_robin_scheduling 0
		.amdhsa_exception_fp_ieee_invalid_op 0
		.amdhsa_exception_fp_denorm_src 0
		.amdhsa_exception_fp_ieee_div_zero 0
		.amdhsa_exception_fp_ieee_overflow 0
		.amdhsa_exception_fp_ieee_underflow 0
		.amdhsa_exception_fp_ieee_inexact 0
		.amdhsa_exception_int_div_zero 0
	.end_amdhsa_kernel
	.text
.Lfunc_end0:
	.size	fft_rtc_fwd_len2700_factors_3_10_10_3_3_wgs_90_tpt_90_halfLds_sp_op_CI_CI_sbrr_dirReg, .Lfunc_end0-fft_rtc_fwd_len2700_factors_3_10_10_3_3_wgs_90_tpt_90_halfLds_sp_op_CI_CI_sbrr_dirReg
                                        ; -- End function
	.section	.AMDGPU.csdata,"",@progbits
; Kernel info:
; codeLenInByte = 21568
; NumSgprs: 45
; NumVgprs: 147
; ScratchSize: 0
; MemoryBound: 0
; FloatMode: 240
; IeeeMode: 1
; LDSByteSize: 0 bytes/workgroup (compile time only)
; SGPRBlocks: 5
; VGPRBlocks: 18
; NumSGPRsForWavesPerEU: 45
; NumVGPRsForWavesPerEU: 147
; Occupancy: 9
; WaveLimiterHint : 1
; COMPUTE_PGM_RSRC2:SCRATCH_EN: 0
; COMPUTE_PGM_RSRC2:USER_SGPR: 2
; COMPUTE_PGM_RSRC2:TRAP_HANDLER: 0
; COMPUTE_PGM_RSRC2:TGID_X_EN: 1
; COMPUTE_PGM_RSRC2:TGID_Y_EN: 0
; COMPUTE_PGM_RSRC2:TGID_Z_EN: 0
; COMPUTE_PGM_RSRC2:TIDIG_COMP_CNT: 0
	.text
	.p2alignl 7, 3214868480
	.fill 96, 4, 3214868480
	.type	__hip_cuid_6cc8de68ba84487d,@object ; @__hip_cuid_6cc8de68ba84487d
	.section	.bss,"aw",@nobits
	.globl	__hip_cuid_6cc8de68ba84487d
__hip_cuid_6cc8de68ba84487d:
	.byte	0                               ; 0x0
	.size	__hip_cuid_6cc8de68ba84487d, 1

	.ident	"AMD clang version 19.0.0git (https://github.com/RadeonOpenCompute/llvm-project roc-6.4.0 25133 c7fe45cf4b819c5991fe208aaa96edf142730f1d)"
	.section	".note.GNU-stack","",@progbits
	.addrsig
	.addrsig_sym __hip_cuid_6cc8de68ba84487d
	.amdgpu_metadata
---
amdhsa.kernels:
  - .args:
      - .actual_access:  read_only
        .address_space:  global
        .offset:         0
        .size:           8
        .value_kind:     global_buffer
      - .offset:         8
        .size:           8
        .value_kind:     by_value
      - .actual_access:  read_only
        .address_space:  global
        .offset:         16
        .size:           8
        .value_kind:     global_buffer
      - .actual_access:  read_only
        .address_space:  global
        .offset:         24
        .size:           8
        .value_kind:     global_buffer
      - .actual_access:  read_only
        .address_space:  global
        .offset:         32
        .size:           8
        .value_kind:     global_buffer
      - .offset:         40
        .size:           8
        .value_kind:     by_value
      - .actual_access:  read_only
        .address_space:  global
        .offset:         48
        .size:           8
        .value_kind:     global_buffer
      - .actual_access:  read_only
        .address_space:  global
        .offset:         56
        .size:           8
        .value_kind:     global_buffer
      - .offset:         64
        .size:           4
        .value_kind:     by_value
      - .actual_access:  read_only
        .address_space:  global
        .offset:         72
        .size:           8
        .value_kind:     global_buffer
      - .actual_access:  read_only
        .address_space:  global
        .offset:         80
        .size:           8
        .value_kind:     global_buffer
      - .actual_access:  read_only
        .address_space:  global
        .offset:         88
        .size:           8
        .value_kind:     global_buffer
      - .actual_access:  write_only
        .address_space:  global
        .offset:         96
        .size:           8
        .value_kind:     global_buffer
    .group_segment_fixed_size: 0
    .kernarg_segment_align: 8
    .kernarg_segment_size: 104
    .language:       OpenCL C
    .language_version:
      - 2
      - 0
    .max_flat_workgroup_size: 90
    .name:           fft_rtc_fwd_len2700_factors_3_10_10_3_3_wgs_90_tpt_90_halfLds_sp_op_CI_CI_sbrr_dirReg
    .private_segment_fixed_size: 0
    .sgpr_count:     45
    .sgpr_spill_count: 0
    .symbol:         fft_rtc_fwd_len2700_factors_3_10_10_3_3_wgs_90_tpt_90_halfLds_sp_op_CI_CI_sbrr_dirReg.kd
    .uniform_work_group_size: 1
    .uses_dynamic_stack: false
    .vgpr_count:     147
    .vgpr_spill_count: 0
    .wavefront_size: 32
    .workgroup_processor_mode: 1
amdhsa.target:   amdgcn-amd-amdhsa--gfx1201
amdhsa.version:
  - 1
  - 2
...

	.end_amdgpu_metadata
